;; amdgpu-corpus repo=ROCm/rocSPARSE kind=compiled arch=gfx1100 opt=O3
	.text
	.amdgcn_target "amdgcn-amd-amdhsa--gfx1100"
	.amdhsa_code_object_version 6
	.section	.text._ZN9rocsparseL12gemvi_kernelILj1024ELj32EifEEvT1_S1_NS_24const_host_device_scalarIT2_EEPKS3_lS1_S6_PKS1_S4_PS3_21rocsparse_index_base_b,"axG",@progbits,_ZN9rocsparseL12gemvi_kernelILj1024ELj32EifEEvT1_S1_NS_24const_host_device_scalarIT2_EEPKS3_lS1_S6_PKS1_S4_PS3_21rocsparse_index_base_b,comdat
	.globl	_ZN9rocsparseL12gemvi_kernelILj1024ELj32EifEEvT1_S1_NS_24const_host_device_scalarIT2_EEPKS3_lS1_S6_PKS1_S4_PS3_21rocsparse_index_base_b ; -- Begin function _ZN9rocsparseL12gemvi_kernelILj1024ELj32EifEEvT1_S1_NS_24const_host_device_scalarIT2_EEPKS3_lS1_S6_PKS1_S4_PS3_21rocsparse_index_base_b
	.p2align	8
	.type	_ZN9rocsparseL12gemvi_kernelILj1024ELj32EifEEvT1_S1_NS_24const_host_device_scalarIT2_EEPKS3_lS1_S6_PKS1_S4_PS3_21rocsparse_index_base_b,@function
_ZN9rocsparseL12gemvi_kernelILj1024ELj32EifEEvT1_S1_NS_24const_host_device_scalarIT2_EEPKS3_lS1_S6_PKS1_S4_PS3_21rocsparse_index_base_b: ; @_ZN9rocsparseL12gemvi_kernelILj1024ELj32EifEEvT1_S1_NS_24const_host_device_scalarIT2_EEPKS3_lS1_S6_PKS1_S4_PS3_21rocsparse_index_base_b
; %bb.0:
	s_clause 0x2
	s_load_b64 s[12:13], s[0:1], 0x48
	s_load_b64 s[8:9], s[0:1], 0x8
	;; [unrolled: 1-line block ×3, first 2 shown]
	s_waitcnt lgkmcnt(0)
	s_bitcmp1_b32 s13, 0
	s_cselect_b32 s2, -1, 0
	s_delay_alu instid0(SALU_CYCLE_1)
	s_and_b32 vcc_lo, exec_lo, s2
	s_xor_b32 s2, s2, -1
	s_cbranch_vccnz .LBB0_2
; %bb.1:
	s_load_b32 s8, s[8:9], 0x0
.LBB0_2:
	s_and_not1_b32 vcc_lo, exec_lo, s2
	s_cbranch_vccnz .LBB0_4
; %bb.3:
	s_load_b32 s10, s[10:11], 0x0
.LBB0_4:
	s_waitcnt lgkmcnt(0)
	v_cmp_neq_f32_e64 s2, s8, 0
	v_cmp_neq_f32_e64 s3, s10, 1.0
	s_delay_alu instid0(VALU_DEP_1) | instskip(NEXT) | instid1(SALU_CYCLE_1)
	s_or_b32 s2, s2, s3
	s_and_not1_b32 vcc_lo, exec_lo, s2
	s_cbranch_vccnz .LBB0_26
; %bb.5:
	s_load_b32 s2, s[0:1], 0x0
	v_dual_mov_b32 v7, 0 :: v_dual_and_b32 v6, 31, v0
	s_mov_b32 s9, exec_lo
	s_delay_alu instid0(VALU_DEP_1) | instskip(SKIP_1) | instid1(VALU_DEP_1)
	v_lshl_or_b32 v1, s15, 5, v6
	s_waitcnt lgkmcnt(0)
	v_cmp_le_i32_e32 vcc_lo, s2, v1
	v_cmpx_gt_i32_e64 s2, v1
	s_cbranch_execz .LBB0_11
; %bb.6:
	s_load_b32 s13, s[0:1], 0x20
	v_lshrrev_b32_e32 v8, 5, v0
	v_mov_b32_e32 v7, 0
	s_mov_b32 s11, exec_lo
	s_waitcnt lgkmcnt(0)
	s_delay_alu instid0(VALU_DEP_2)
	v_cmpx_gt_i32_e64 s13, v8
	s_cbranch_execz .LBB0_10
; %bb.7:
	s_clause 0x1
	s_load_b128 s[4:7], s[0:1], 0x10
	s_load_b128 s[16:19], s[0:1], 0x28
	v_ashrrev_i32_e32 v2, 31, v1
	v_lshrrev_b32_e32 v4, 3, v0
	v_mov_b32_e32 v7, 0
	s_delay_alu instid0(VALU_DEP_3) | instskip(NEXT) | instid1(VALU_DEP_3)
	v_lshlrev_b64 v[2:3], 2, v[1:2]
	v_and_b32_e32 v4, 0x7c, v4
	s_waitcnt lgkmcnt(0)
	s_delay_alu instid0(VALU_DEP_2) | instskip(NEXT) | instid1(VALU_DEP_1)
	v_add_co_u32 v9, s2, s4, v2
	v_add_co_ci_u32_e64 v10, s2, s5, v3, s2
	s_delay_alu instid0(VALU_DEP_3) | instskip(NEXT) | instid1(VALU_DEP_1)
	v_add_co_u32 v2, s2, s16, v4
	v_add_co_ci_u32_e64 v3, null, s17, 0, s2
	v_add_co_u32 v4, s2, s18, v4
	s_delay_alu instid0(VALU_DEP_1)
	v_add_co_ci_u32_e64 v5, null, s19, 0, s2
	s_mov_b32 s4, 0
	s_set_inst_prefetch_distance 0x1
	.p2align	6
.LBB0_8:                                ; =>This Inner Loop Header: Depth=1
	global_load_b32 v11, v[4:5], off
	s_waitcnt vmcnt(0)
	v_subrev_nc_u32_e32 v13, s12, v11
	s_delay_alu instid0(VALU_DEP_1) | instskip(SKIP_2) | instid1(VALU_DEP_3)
	v_ashrrev_i32_e32 v14, 31, v13
	v_mul_lo_u32 v15, v13, s7
	v_mad_u64_u32 v[11:12], null, v13, s6, 0
	v_mul_lo_u32 v13, v14, s6
	s_delay_alu instid0(VALU_DEP_1) | instskip(NEXT) | instid1(VALU_DEP_1)
	v_add3_u32 v12, v12, v15, v13
	v_lshlrev_b64 v[11:12], 2, v[11:12]
	s_delay_alu instid0(VALU_DEP_1) | instskip(NEXT) | instid1(VALU_DEP_1)
	v_add_co_u32 v11, s2, v9, v11
	v_add_co_ci_u32_e64 v12, s2, v10, v12, s2
	global_load_b32 v13, v[2:3], off
	global_load_b32 v11, v[11:12], off
	v_add_nc_u32_e32 v8, 32, v8
	v_add_co_u32 v2, s2, 0x80, v2
	s_delay_alu instid0(VALU_DEP_1) | instskip(SKIP_1) | instid1(VALU_DEP_1)
	v_add_co_ci_u32_e64 v3, s2, 0, v3, s2
	v_add_co_u32 v4, s2, 0x80, v4
	v_add_co_ci_u32_e64 v5, s2, 0, v5, s2
	s_waitcnt vmcnt(0)
	v_fmac_f32_e32 v7, v13, v11
	v_cmp_le_i32_e64 s3, s13, v8
	s_delay_alu instid0(VALU_DEP_1) | instskip(NEXT) | instid1(SALU_CYCLE_1)
	s_or_b32 s4, s3, s4
	s_and_not1_b32 exec_lo, exec_lo, s4
	s_cbranch_execnz .LBB0_8
; %bb.9:
	s_set_inst_prefetch_distance 0x2
	s_or_b32 exec_lo, exec_lo, s4
.LBB0_10:
	s_delay_alu instid0(SALU_CYCLE_1)
	s_or_b32 exec_lo, exec_lo, s11
.LBB0_11:
	s_delay_alu instid0(SALU_CYCLE_1)
	s_or_b32 exec_lo, exec_lo, s9
	v_lshlrev_b32_e32 v2, 2, v0
	s_mov_b32 s3, exec_lo
	ds_store_b32 v2, v7
	s_waitcnt lgkmcnt(0)
	s_barrier
	buffer_gl0_inv
	v_cmpx_gt_u32_e32 0x200, v0
	s_cbranch_execz .LBB0_13
; %bb.12:
	ds_load_2addr_stride64_b32 v[3:4], v2 offset1:8
	s_waitcnt lgkmcnt(0)
	v_add_f32_e32 v3, v4, v3
	ds_store_b32 v2, v3
.LBB0_13:
	s_or_b32 exec_lo, exec_lo, s3
	s_delay_alu instid0(SALU_CYCLE_1)
	s_mov_b32 s3, exec_lo
	s_waitcnt lgkmcnt(0)
	s_barrier
	buffer_gl0_inv
	v_cmpx_gt_u32_e32 0x100, v0
	s_cbranch_execz .LBB0_15
; %bb.14:
	ds_load_2addr_stride64_b32 v[3:4], v2 offset1:4
	s_waitcnt lgkmcnt(0)
	v_add_f32_e32 v3, v4, v3
	ds_store_b32 v2, v3
.LBB0_15:
	s_or_b32 exec_lo, exec_lo, s3
	s_delay_alu instid0(SALU_CYCLE_1)
	s_mov_b32 s3, exec_lo
	;; [unrolled: 14-line block ×3, first 2 shown]
	s_waitcnt lgkmcnt(0)
	s_barrier
	buffer_gl0_inv
	v_cmpx_gt_u32_e32 64, v0
	s_cbranch_execz .LBB0_19
; %bb.18:
	ds_load_2addr_stride64_b32 v[3:4], v2 offset1:1
	s_waitcnt lgkmcnt(0)
	v_add_f32_e32 v3, v4, v3
	ds_store_b32 v2, v3
.LBB0_19:
	s_or_b32 exec_lo, exec_lo, s3
	v_cmp_lt_u32_e64 s2, 31, v0
	s_mov_b32 s4, exec_lo
	s_waitcnt lgkmcnt(0)
	s_barrier
	buffer_gl0_inv
	v_cmpx_gt_u32_e32 32, v0
	s_cbranch_execz .LBB0_21
; %bb.20:
	ds_load_2addr_b32 v[3:4], v2 offset1:32
	s_waitcnt lgkmcnt(0)
	v_add_f32_e32 v0, v4, v3
	ds_store_b32 v2, v0
.LBB0_21:
	s_or_b32 exec_lo, exec_lo, s4
	s_or_b32 s3, s2, vcc_lo
	s_mov_b32 s2, -1
	s_xor_b32 s3, s3, -1
	s_delay_alu instid0(SALU_CYCLE_1)
	s_and_saveexec_b32 s4, s3
	s_cbranch_execz .LBB0_26
; %bb.22:
	v_lshlrev_b32_e32 v0, 2, v6
	s_load_b64 s[0:1], s[0:1], 0x40
	v_cmp_eq_f32_e64 s3, s10, 0
	v_ashrrev_i32_e32 v2, 31, v1
	ds_load_b32 v0, v0
	s_and_b32 vcc_lo, exec_lo, s3
	s_cbranch_vccz .LBB0_24
; %bb.23:
	v_lshlrev_b64 v[3:4], 2, v[1:2]
	s_waitcnt lgkmcnt(0)
	v_mul_f32_e32 v5, s8, v0
	s_mov_b32 s2, 0
	s_delay_alu instid0(VALU_DEP_2) | instskip(NEXT) | instid1(VALU_DEP_3)
	v_add_co_u32 v3, vcc_lo, s0, v3
	v_add_co_ci_u32_e32 v4, vcc_lo, s1, v4, vcc_lo
	global_store_b32 v[3:4], v5, off
.LBB0_24:
	s_and_not1_b32 vcc_lo, exec_lo, s2
	s_cbranch_vccnz .LBB0_26
; %bb.25:
	v_lshlrev_b64 v[1:2], 2, v[1:2]
	s_waitcnt lgkmcnt(0)
	s_delay_alu instid0(VALU_DEP_1) | instskip(NEXT) | instid1(VALU_DEP_2)
	v_add_co_u32 v1, vcc_lo, s0, v1
	v_add_co_ci_u32_e32 v2, vcc_lo, s1, v2, vcc_lo
	global_load_b32 v3, v[1:2], off
	s_waitcnt vmcnt(0)
	v_mul_f32_e32 v3, s10, v3
	s_delay_alu instid0(VALU_DEP_1)
	v_fmac_f32_e32 v3, s8, v0
	global_store_b32 v[1:2], v3, off
.LBB0_26:
	s_nop 0
	s_sendmsg sendmsg(MSG_DEALLOC_VGPRS)
	s_endpgm
	.section	.rodata,"a",@progbits
	.p2align	6, 0x0
	.amdhsa_kernel _ZN9rocsparseL12gemvi_kernelILj1024ELj32EifEEvT1_S1_NS_24const_host_device_scalarIT2_EEPKS3_lS1_S6_PKS1_S4_PS3_21rocsparse_index_base_b
		.amdhsa_group_segment_fixed_size 4096
		.amdhsa_private_segment_fixed_size 0
		.amdhsa_kernarg_size 80
		.amdhsa_user_sgpr_count 15
		.amdhsa_user_sgpr_dispatch_ptr 0
		.amdhsa_user_sgpr_queue_ptr 0
		.amdhsa_user_sgpr_kernarg_segment_ptr 1
		.amdhsa_user_sgpr_dispatch_id 0
		.amdhsa_user_sgpr_private_segment_size 0
		.amdhsa_wavefront_size32 1
		.amdhsa_uses_dynamic_stack 0
		.amdhsa_enable_private_segment 0
		.amdhsa_system_sgpr_workgroup_id_x 1
		.amdhsa_system_sgpr_workgroup_id_y 0
		.amdhsa_system_sgpr_workgroup_id_z 0
		.amdhsa_system_sgpr_workgroup_info 0
		.amdhsa_system_vgpr_workitem_id 0
		.amdhsa_next_free_vgpr 16
		.amdhsa_next_free_sgpr 20
		.amdhsa_reserve_vcc 1
		.amdhsa_float_round_mode_32 0
		.amdhsa_float_round_mode_16_64 0
		.amdhsa_float_denorm_mode_32 3
		.amdhsa_float_denorm_mode_16_64 3
		.amdhsa_dx10_clamp 1
		.amdhsa_ieee_mode 1
		.amdhsa_fp16_overflow 0
		.amdhsa_workgroup_processor_mode 1
		.amdhsa_memory_ordered 1
		.amdhsa_forward_progress 0
		.amdhsa_shared_vgpr_count 0
		.amdhsa_exception_fp_ieee_invalid_op 0
		.amdhsa_exception_fp_denorm_src 0
		.amdhsa_exception_fp_ieee_div_zero 0
		.amdhsa_exception_fp_ieee_overflow 0
		.amdhsa_exception_fp_ieee_underflow 0
		.amdhsa_exception_fp_ieee_inexact 0
		.amdhsa_exception_int_div_zero 0
	.end_amdhsa_kernel
	.section	.text._ZN9rocsparseL12gemvi_kernelILj1024ELj32EifEEvT1_S1_NS_24const_host_device_scalarIT2_EEPKS3_lS1_S6_PKS1_S4_PS3_21rocsparse_index_base_b,"axG",@progbits,_ZN9rocsparseL12gemvi_kernelILj1024ELj32EifEEvT1_S1_NS_24const_host_device_scalarIT2_EEPKS3_lS1_S6_PKS1_S4_PS3_21rocsparse_index_base_b,comdat
.Lfunc_end0:
	.size	_ZN9rocsparseL12gemvi_kernelILj1024ELj32EifEEvT1_S1_NS_24const_host_device_scalarIT2_EEPKS3_lS1_S6_PKS1_S4_PS3_21rocsparse_index_base_b, .Lfunc_end0-_ZN9rocsparseL12gemvi_kernelILj1024ELj32EifEEvT1_S1_NS_24const_host_device_scalarIT2_EEPKS3_lS1_S6_PKS1_S4_PS3_21rocsparse_index_base_b
                                        ; -- End function
	.section	.AMDGPU.csdata,"",@progbits
; Kernel info:
; codeLenInByte = 1052
; NumSgprs: 22
; NumVgprs: 16
; ScratchSize: 0
; MemoryBound: 0
; FloatMode: 240
; IeeeMode: 1
; LDSByteSize: 4096 bytes/workgroup (compile time only)
; SGPRBlocks: 2
; VGPRBlocks: 1
; NumSGPRsForWavesPerEU: 22
; NumVGPRsForWavesPerEU: 16
; Occupancy: 16
; WaveLimiterHint : 1
; COMPUTE_PGM_RSRC2:SCRATCH_EN: 0
; COMPUTE_PGM_RSRC2:USER_SGPR: 15
; COMPUTE_PGM_RSRC2:TRAP_HANDLER: 0
; COMPUTE_PGM_RSRC2:TGID_X_EN: 1
; COMPUTE_PGM_RSRC2:TGID_Y_EN: 0
; COMPUTE_PGM_RSRC2:TGID_Z_EN: 0
; COMPUTE_PGM_RSRC2:TIDIG_COMP_CNT: 0
	.section	.text._ZN9rocsparseL12gemvi_kernelILj1024ELj64EifEEvT1_S1_NS_24const_host_device_scalarIT2_EEPKS3_lS1_S6_PKS1_S4_PS3_21rocsparse_index_base_b,"axG",@progbits,_ZN9rocsparseL12gemvi_kernelILj1024ELj64EifEEvT1_S1_NS_24const_host_device_scalarIT2_EEPKS3_lS1_S6_PKS1_S4_PS3_21rocsparse_index_base_b,comdat
	.globl	_ZN9rocsparseL12gemvi_kernelILj1024ELj64EifEEvT1_S1_NS_24const_host_device_scalarIT2_EEPKS3_lS1_S6_PKS1_S4_PS3_21rocsparse_index_base_b ; -- Begin function _ZN9rocsparseL12gemvi_kernelILj1024ELj64EifEEvT1_S1_NS_24const_host_device_scalarIT2_EEPKS3_lS1_S6_PKS1_S4_PS3_21rocsparse_index_base_b
	.p2align	8
	.type	_ZN9rocsparseL12gemvi_kernelILj1024ELj64EifEEvT1_S1_NS_24const_host_device_scalarIT2_EEPKS3_lS1_S6_PKS1_S4_PS3_21rocsparse_index_base_b,@function
_ZN9rocsparseL12gemvi_kernelILj1024ELj64EifEEvT1_S1_NS_24const_host_device_scalarIT2_EEPKS3_lS1_S6_PKS1_S4_PS3_21rocsparse_index_base_b: ; @_ZN9rocsparseL12gemvi_kernelILj1024ELj64EifEEvT1_S1_NS_24const_host_device_scalarIT2_EEPKS3_lS1_S6_PKS1_S4_PS3_21rocsparse_index_base_b
; %bb.0:
	s_clause 0x2
	s_load_b64 s[12:13], s[0:1], 0x48
	s_load_b64 s[8:9], s[0:1], 0x8
	;; [unrolled: 1-line block ×3, first 2 shown]
	s_waitcnt lgkmcnt(0)
	s_bitcmp1_b32 s13, 0
	s_cselect_b32 s2, -1, 0
	s_delay_alu instid0(SALU_CYCLE_1)
	s_and_b32 vcc_lo, exec_lo, s2
	s_xor_b32 s2, s2, -1
	s_cbranch_vccnz .LBB1_2
; %bb.1:
	s_load_b32 s8, s[8:9], 0x0
.LBB1_2:
	s_and_not1_b32 vcc_lo, exec_lo, s2
	s_cbranch_vccnz .LBB1_4
; %bb.3:
	s_load_b32 s10, s[10:11], 0x0
.LBB1_4:
	s_waitcnt lgkmcnt(0)
	v_cmp_neq_f32_e64 s2, s8, 0
	v_cmp_neq_f32_e64 s3, s10, 1.0
	s_delay_alu instid0(VALU_DEP_1) | instskip(NEXT) | instid1(SALU_CYCLE_1)
	s_or_b32 s2, s2, s3
	s_and_not1_b32 vcc_lo, exec_lo, s2
	s_cbranch_vccnz .LBB1_24
; %bb.5:
	s_load_b32 s2, s[0:1], 0x0
	v_dual_mov_b32 v7, 0 :: v_dual_and_b32 v6, 63, v0
	s_mov_b32 s9, exec_lo
	s_delay_alu instid0(VALU_DEP_1) | instskip(SKIP_1) | instid1(VALU_DEP_1)
	v_lshl_or_b32 v1, s15, 6, v6
	s_waitcnt lgkmcnt(0)
	v_cmp_le_i32_e32 vcc_lo, s2, v1
	v_cmpx_gt_i32_e64 s2, v1
	s_cbranch_execz .LBB1_11
; %bb.6:
	s_load_b32 s13, s[0:1], 0x20
	v_lshrrev_b32_e32 v8, 6, v0
	v_mov_b32_e32 v7, 0
	s_mov_b32 s11, exec_lo
	s_waitcnt lgkmcnt(0)
	s_delay_alu instid0(VALU_DEP_2)
	v_cmpx_gt_i32_e64 s13, v8
	s_cbranch_execz .LBB1_10
; %bb.7:
	s_clause 0x1
	s_load_b128 s[4:7], s[0:1], 0x10
	s_load_b128 s[16:19], s[0:1], 0x28
	v_ashrrev_i32_e32 v2, 31, v1
	v_lshrrev_b32_e32 v4, 4, v0
	v_mov_b32_e32 v7, 0
	s_delay_alu instid0(VALU_DEP_3) | instskip(NEXT) | instid1(VALU_DEP_3)
	v_lshlrev_b64 v[2:3], 2, v[1:2]
	v_and_b32_e32 v4, 60, v4
	s_waitcnt lgkmcnt(0)
	s_delay_alu instid0(VALU_DEP_2) | instskip(NEXT) | instid1(VALU_DEP_1)
	v_add_co_u32 v9, s2, s4, v2
	v_add_co_ci_u32_e64 v10, s2, s5, v3, s2
	s_delay_alu instid0(VALU_DEP_3) | instskip(NEXT) | instid1(VALU_DEP_1)
	v_add_co_u32 v2, s2, s16, v4
	v_add_co_ci_u32_e64 v3, null, s17, 0, s2
	v_add_co_u32 v4, s2, s18, v4
	s_delay_alu instid0(VALU_DEP_1)
	v_add_co_ci_u32_e64 v5, null, s19, 0, s2
	s_mov_b32 s4, 0
	s_set_inst_prefetch_distance 0x1
	.p2align	6
.LBB1_8:                                ; =>This Inner Loop Header: Depth=1
	global_load_b32 v11, v[4:5], off
	s_waitcnt vmcnt(0)
	v_subrev_nc_u32_e32 v13, s12, v11
	s_delay_alu instid0(VALU_DEP_1) | instskip(SKIP_2) | instid1(VALU_DEP_3)
	v_ashrrev_i32_e32 v14, 31, v13
	v_mul_lo_u32 v15, v13, s7
	v_mad_u64_u32 v[11:12], null, v13, s6, 0
	v_mul_lo_u32 v13, v14, s6
	s_delay_alu instid0(VALU_DEP_1) | instskip(NEXT) | instid1(VALU_DEP_1)
	v_add3_u32 v12, v12, v15, v13
	v_lshlrev_b64 v[11:12], 2, v[11:12]
	s_delay_alu instid0(VALU_DEP_1) | instskip(NEXT) | instid1(VALU_DEP_1)
	v_add_co_u32 v11, s2, v9, v11
	v_add_co_ci_u32_e64 v12, s2, v10, v12, s2
	global_load_b32 v13, v[2:3], off
	global_load_b32 v11, v[11:12], off
	v_add_nc_u32_e32 v8, 16, v8
	v_add_co_u32 v2, s2, v2, 64
	s_delay_alu instid0(VALU_DEP_1) | instskip(SKIP_1) | instid1(VALU_DEP_1)
	v_add_co_ci_u32_e64 v3, s2, 0, v3, s2
	v_add_co_u32 v4, s2, v4, 64
	v_add_co_ci_u32_e64 v5, s2, 0, v5, s2
	s_waitcnt vmcnt(0)
	v_fmac_f32_e32 v7, v13, v11
	v_cmp_le_i32_e64 s3, s13, v8
	s_delay_alu instid0(VALU_DEP_1) | instskip(NEXT) | instid1(SALU_CYCLE_1)
	s_or_b32 s4, s3, s4
	s_and_not1_b32 exec_lo, exec_lo, s4
	s_cbranch_execnz .LBB1_8
; %bb.9:
	s_set_inst_prefetch_distance 0x2
	s_or_b32 exec_lo, exec_lo, s4
.LBB1_10:
	s_delay_alu instid0(SALU_CYCLE_1)
	s_or_b32 exec_lo, exec_lo, s11
.LBB1_11:
	s_delay_alu instid0(SALU_CYCLE_1)
	s_or_b32 exec_lo, exec_lo, s9
	v_lshlrev_b32_e32 v2, 2, v0
	s_mov_b32 s3, exec_lo
	ds_store_b32 v2, v7
	s_waitcnt lgkmcnt(0)
	s_barrier
	buffer_gl0_inv
	v_cmpx_gt_u32_e32 0x200, v0
	s_cbranch_execz .LBB1_13
; %bb.12:
	ds_load_2addr_stride64_b32 v[3:4], v2 offset1:8
	s_waitcnt lgkmcnt(0)
	v_add_f32_e32 v3, v4, v3
	ds_store_b32 v2, v3
.LBB1_13:
	s_or_b32 exec_lo, exec_lo, s3
	s_delay_alu instid0(SALU_CYCLE_1)
	s_mov_b32 s3, exec_lo
	s_waitcnt lgkmcnt(0)
	s_barrier
	buffer_gl0_inv
	v_cmpx_gt_u32_e32 0x100, v0
	s_cbranch_execz .LBB1_15
; %bb.14:
	ds_load_2addr_stride64_b32 v[3:4], v2 offset1:4
	s_waitcnt lgkmcnt(0)
	v_add_f32_e32 v3, v4, v3
	ds_store_b32 v2, v3
.LBB1_15:
	s_or_b32 exec_lo, exec_lo, s3
	s_delay_alu instid0(SALU_CYCLE_1)
	s_mov_b32 s3, exec_lo
	s_waitcnt lgkmcnt(0)
	s_barrier
	buffer_gl0_inv
	v_cmpx_gt_u32_e32 0x80, v0
	s_cbranch_execz .LBB1_17
; %bb.16:
	ds_load_2addr_stride64_b32 v[3:4], v2 offset1:2
	s_waitcnt lgkmcnt(0)
	v_add_f32_e32 v3, v4, v3
	ds_store_b32 v2, v3
.LBB1_17:
	s_or_b32 exec_lo, exec_lo, s3
	v_cmp_lt_u32_e64 s2, 63, v0
	s_mov_b32 s4, exec_lo
	s_waitcnt lgkmcnt(0)
	s_barrier
	buffer_gl0_inv
	v_cmpx_gt_u32_e32 64, v0
	s_cbranch_execz .LBB1_19
; %bb.18:
	ds_load_2addr_stride64_b32 v[3:4], v2 offset1:1
	s_waitcnt lgkmcnt(0)
	v_add_f32_e32 v0, v4, v3
	ds_store_b32 v2, v0
.LBB1_19:
	s_or_b32 exec_lo, exec_lo, s4
	s_or_b32 s3, s2, vcc_lo
	s_mov_b32 s2, -1
	s_xor_b32 s3, s3, -1
	s_delay_alu instid0(SALU_CYCLE_1)
	s_and_saveexec_b32 s4, s3
	s_cbranch_execz .LBB1_24
; %bb.20:
	v_lshlrev_b32_e32 v0, 2, v6
	s_load_b64 s[0:1], s[0:1], 0x40
	v_cmp_eq_f32_e64 s3, s10, 0
	v_ashrrev_i32_e32 v2, 31, v1
	ds_load_b32 v0, v0
	s_and_b32 vcc_lo, exec_lo, s3
	s_cbranch_vccz .LBB1_22
; %bb.21:
	v_lshlrev_b64 v[3:4], 2, v[1:2]
	s_waitcnt lgkmcnt(0)
	v_mul_f32_e32 v5, s8, v0
	s_mov_b32 s2, 0
	s_delay_alu instid0(VALU_DEP_2) | instskip(NEXT) | instid1(VALU_DEP_3)
	v_add_co_u32 v3, vcc_lo, s0, v3
	v_add_co_ci_u32_e32 v4, vcc_lo, s1, v4, vcc_lo
	global_store_b32 v[3:4], v5, off
.LBB1_22:
	s_and_not1_b32 vcc_lo, exec_lo, s2
	s_cbranch_vccnz .LBB1_24
; %bb.23:
	v_lshlrev_b64 v[1:2], 2, v[1:2]
	s_waitcnt lgkmcnt(0)
	s_delay_alu instid0(VALU_DEP_1) | instskip(NEXT) | instid1(VALU_DEP_2)
	v_add_co_u32 v1, vcc_lo, s0, v1
	v_add_co_ci_u32_e32 v2, vcc_lo, s1, v2, vcc_lo
	global_load_b32 v3, v[1:2], off
	s_waitcnt vmcnt(0)
	v_mul_f32_e32 v3, s10, v3
	s_delay_alu instid0(VALU_DEP_1)
	v_fmac_f32_e32 v3, s8, v0
	global_store_b32 v[1:2], v3, off
.LBB1_24:
	s_nop 0
	s_sendmsg sendmsg(MSG_DEALLOC_VGPRS)
	s_endpgm
	.section	.rodata,"a",@progbits
	.p2align	6, 0x0
	.amdhsa_kernel _ZN9rocsparseL12gemvi_kernelILj1024ELj64EifEEvT1_S1_NS_24const_host_device_scalarIT2_EEPKS3_lS1_S6_PKS1_S4_PS3_21rocsparse_index_base_b
		.amdhsa_group_segment_fixed_size 4096
		.amdhsa_private_segment_fixed_size 0
		.amdhsa_kernarg_size 80
		.amdhsa_user_sgpr_count 15
		.amdhsa_user_sgpr_dispatch_ptr 0
		.amdhsa_user_sgpr_queue_ptr 0
		.amdhsa_user_sgpr_kernarg_segment_ptr 1
		.amdhsa_user_sgpr_dispatch_id 0
		.amdhsa_user_sgpr_private_segment_size 0
		.amdhsa_wavefront_size32 1
		.amdhsa_uses_dynamic_stack 0
		.amdhsa_enable_private_segment 0
		.amdhsa_system_sgpr_workgroup_id_x 1
		.amdhsa_system_sgpr_workgroup_id_y 0
		.amdhsa_system_sgpr_workgroup_id_z 0
		.amdhsa_system_sgpr_workgroup_info 0
		.amdhsa_system_vgpr_workitem_id 0
		.amdhsa_next_free_vgpr 16
		.amdhsa_next_free_sgpr 20
		.amdhsa_reserve_vcc 1
		.amdhsa_float_round_mode_32 0
		.amdhsa_float_round_mode_16_64 0
		.amdhsa_float_denorm_mode_32 3
		.amdhsa_float_denorm_mode_16_64 3
		.amdhsa_dx10_clamp 1
		.amdhsa_ieee_mode 1
		.amdhsa_fp16_overflow 0
		.amdhsa_workgroup_processor_mode 1
		.amdhsa_memory_ordered 1
		.amdhsa_forward_progress 0
		.amdhsa_shared_vgpr_count 0
		.amdhsa_exception_fp_ieee_invalid_op 0
		.amdhsa_exception_fp_denorm_src 0
		.amdhsa_exception_fp_ieee_div_zero 0
		.amdhsa_exception_fp_ieee_overflow 0
		.amdhsa_exception_fp_ieee_underflow 0
		.amdhsa_exception_fp_ieee_inexact 0
		.amdhsa_exception_int_div_zero 0
	.end_amdhsa_kernel
	.section	.text._ZN9rocsparseL12gemvi_kernelILj1024ELj64EifEEvT1_S1_NS_24const_host_device_scalarIT2_EEPKS3_lS1_S6_PKS1_S4_PS3_21rocsparse_index_base_b,"axG",@progbits,_ZN9rocsparseL12gemvi_kernelILj1024ELj64EifEEvT1_S1_NS_24const_host_device_scalarIT2_EEPKS3_lS1_S6_PKS1_S4_PS3_21rocsparse_index_base_b,comdat
.Lfunc_end1:
	.size	_ZN9rocsparseL12gemvi_kernelILj1024ELj64EifEEvT1_S1_NS_24const_host_device_scalarIT2_EEPKS3_lS1_S6_PKS1_S4_PS3_21rocsparse_index_base_b, .Lfunc_end1-_ZN9rocsparseL12gemvi_kernelILj1024ELj64EifEEvT1_S1_NS_24const_host_device_scalarIT2_EEPKS3_lS1_S6_PKS1_S4_PS3_21rocsparse_index_base_b
                                        ; -- End function
	.section	.AMDGPU.csdata,"",@progbits
; Kernel info:
; codeLenInByte = 980
; NumSgprs: 22
; NumVgprs: 16
; ScratchSize: 0
; MemoryBound: 0
; FloatMode: 240
; IeeeMode: 1
; LDSByteSize: 4096 bytes/workgroup (compile time only)
; SGPRBlocks: 2
; VGPRBlocks: 1
; NumSGPRsForWavesPerEU: 22
; NumVGPRsForWavesPerEU: 16
; Occupancy: 16
; WaveLimiterHint : 1
; COMPUTE_PGM_RSRC2:SCRATCH_EN: 0
; COMPUTE_PGM_RSRC2:USER_SGPR: 15
; COMPUTE_PGM_RSRC2:TRAP_HANDLER: 0
; COMPUTE_PGM_RSRC2:TGID_X_EN: 1
; COMPUTE_PGM_RSRC2:TGID_Y_EN: 0
; COMPUTE_PGM_RSRC2:TGID_Z_EN: 0
; COMPUTE_PGM_RSRC2:TIDIG_COMP_CNT: 0
	.section	.text._ZN9rocsparseL12gemvi_kernelILj1024ELj32EidEEvT1_S1_NS_24const_host_device_scalarIT2_EEPKS3_lS1_S6_PKS1_S4_PS3_21rocsparse_index_base_b,"axG",@progbits,_ZN9rocsparseL12gemvi_kernelILj1024ELj32EidEEvT1_S1_NS_24const_host_device_scalarIT2_EEPKS3_lS1_S6_PKS1_S4_PS3_21rocsparse_index_base_b,comdat
	.globl	_ZN9rocsparseL12gemvi_kernelILj1024ELj32EidEEvT1_S1_NS_24const_host_device_scalarIT2_EEPKS3_lS1_S6_PKS1_S4_PS3_21rocsparse_index_base_b ; -- Begin function _ZN9rocsparseL12gemvi_kernelILj1024ELj32EidEEvT1_S1_NS_24const_host_device_scalarIT2_EEPKS3_lS1_S6_PKS1_S4_PS3_21rocsparse_index_base_b
	.p2align	8
	.type	_ZN9rocsparseL12gemvi_kernelILj1024ELj32EidEEvT1_S1_NS_24const_host_device_scalarIT2_EEPKS3_lS1_S6_PKS1_S4_PS3_21rocsparse_index_base_b,@function
_ZN9rocsparseL12gemvi_kernelILj1024ELj32EidEEvT1_S1_NS_24const_host_device_scalarIT2_EEPKS3_lS1_S6_PKS1_S4_PS3_21rocsparse_index_base_b: ; @_ZN9rocsparseL12gemvi_kernelILj1024ELj32EidEEvT1_S1_NS_24const_host_device_scalarIT2_EEPKS3_lS1_S6_PKS1_S4_PS3_21rocsparse_index_base_b
; %bb.0:
	s_clause 0x2
	s_load_b64 s[8:9], s[0:1], 0x48
	s_load_b64 s[4:5], s[0:1], 0x8
	;; [unrolled: 1-line block ×3, first 2 shown]
	s_waitcnt lgkmcnt(0)
	s_bitcmp1_b32 s9, 0
	v_dual_mov_b32 v1, s4 :: v_dual_mov_b32 v2, s5
	s_cselect_b32 s6, -1, 0
	s_delay_alu instid0(SALU_CYCLE_1)
	s_and_b32 vcc_lo, exec_lo, s6
	s_xor_b32 s6, s6, -1
	s_cbranch_vccnz .LBB2_2
; %bb.1:
	v_dual_mov_b32 v1, s4 :: v_dual_mov_b32 v2, s5
	flat_load_b64 v[1:2], v[1:2]
.LBB2_2:
	v_dual_mov_b32 v4, s3 :: v_dual_mov_b32 v3, s2
	s_and_not1_b32 vcc_lo, exec_lo, s6
	s_cbranch_vccnz .LBB2_4
; %bb.3:
	v_dual_mov_b32 v4, s3 :: v_dual_mov_b32 v3, s2
	flat_load_b64 v[3:4], v[3:4]
.LBB2_4:
	s_waitcnt vmcnt(0) lgkmcnt(0)
	v_cmp_neq_f64_e32 vcc_lo, 0, v[1:2]
	v_cmp_neq_f64_e64 s2, 1.0, v[3:4]
	s_delay_alu instid0(VALU_DEP_1) | instskip(NEXT) | instid1(SALU_CYCLE_1)
	s_or_b32 s2, vcc_lo, s2
	s_and_saveexec_b32 s3, s2
	s_cbranch_execz .LBB2_26
; %bb.5:
	s_load_b32 s2, s[0:1], 0x0
	v_and_b32_e32 v12, 31, v0
	v_mov_b32_e32 v6, 0
	v_mov_b32_e32 v7, 0
	s_mov_b32 s9, exec_lo
	s_delay_alu instid0(VALU_DEP_3) | instskip(SKIP_1) | instid1(VALU_DEP_1)
	v_lshl_or_b32 v5, s15, 5, v12
	s_waitcnt lgkmcnt(0)
	v_cmp_le_i32_e32 vcc_lo, s2, v5
	v_cmpx_gt_i32_e64 s2, v5
	s_cbranch_execz .LBB2_11
; %bb.6:
	s_load_b32 s10, s[0:1], 0x20
	v_mov_b32_e32 v6, 0
	v_lshrrev_b32_e32 v13, 5, v0
	v_mov_b32_e32 v7, 0
	s_mov_b32 s11, exec_lo
	s_waitcnt lgkmcnt(0)
	s_delay_alu instid0(VALU_DEP_2)
	v_cmpx_gt_i32_e64 s10, v13
	s_cbranch_execz .LBB2_10
; %bb.7:
	s_clause 0x1
	s_load_b128 s[4:7], s[0:1], 0x10
	s_load_b128 s[12:15], s[0:1], 0x28
	v_ashrrev_i32_e32 v6, 31, v5
	v_lshrrev_b32_e32 v10, 5, v0
	s_delay_alu instid0(VALU_DEP_2) | instskip(NEXT) | instid1(VALU_DEP_2)
	v_lshlrev_b64 v[8:9], 3, v[5:6]
	v_dual_mov_b32 v6, 0 :: v_dual_lshlrev_b32 v11, 3, v10
	v_dual_mov_b32 v7, 0 :: v_dual_lshlrev_b32 v10, 2, v10
	s_waitcnt lgkmcnt(0)
	s_delay_alu instid0(VALU_DEP_3) | instskip(NEXT) | instid1(VALU_DEP_1)
	v_add_co_u32 v14, s2, s4, v8
	v_add_co_ci_u32_e64 v15, s2, s5, v9, s2
	v_add_co_u32 v8, s2, s12, v11
	s_delay_alu instid0(VALU_DEP_1) | instskip(SKIP_1) | instid1(VALU_DEP_1)
	v_add_co_ci_u32_e64 v9, null, s13, 0, s2
	v_add_co_u32 v10, s2, s14, v10
	v_add_co_ci_u32_e64 v11, null, s15, 0, s2
	s_mov_b32 s4, 0
	s_set_inst_prefetch_distance 0x1
	.p2align	6
.LBB2_8:                                ; =>This Inner Loop Header: Depth=1
	global_load_b32 v16, v[10:11], off
	v_add_nc_u32_e32 v13, 32, v13
	v_add_co_u32 v10, s3, 0x80, v10
	s_delay_alu instid0(VALU_DEP_1) | instskip(SKIP_2) | instid1(VALU_DEP_1)
	v_add_co_ci_u32_e64 v11, s3, 0, v11, s3
	s_waitcnt vmcnt(0)
	v_subrev_nc_u32_e32 v18, s8, v16
	v_ashrrev_i32_e32 v19, 31, v18
	v_mul_lo_u32 v20, v18, s7
	v_mad_u64_u32 v[16:17], null, v18, s6, 0
	s_delay_alu instid0(VALU_DEP_3) | instskip(NEXT) | instid1(VALU_DEP_1)
	v_mul_lo_u32 v18, v19, s6
	v_add3_u32 v17, v17, v20, v18
	s_delay_alu instid0(VALU_DEP_1) | instskip(NEXT) | instid1(VALU_DEP_1)
	v_lshlrev_b64 v[16:17], 3, v[16:17]
	v_add_co_u32 v16, s2, v14, v16
	s_delay_alu instid0(VALU_DEP_1) | instskip(SKIP_3) | instid1(VALU_DEP_1)
	v_add_co_ci_u32_e64 v17, s2, v15, v17, s2
	global_load_b64 v[18:19], v[8:9], off
	global_load_b64 v[16:17], v[16:17], off
	v_add_co_u32 v8, s2, 0x100, v8
	v_add_co_ci_u32_e64 v9, s2, 0, v9, s2
	v_cmp_le_i32_e64 s2, s10, v13
	s_delay_alu instid0(VALU_DEP_1)
	s_or_b32 s4, s2, s4
	s_waitcnt vmcnt(0)
	v_fma_f64 v[6:7], v[18:19], v[16:17], v[6:7]
	s_and_not1_b32 exec_lo, exec_lo, s4
	s_cbranch_execnz .LBB2_8
; %bb.9:
	s_set_inst_prefetch_distance 0x2
	s_or_b32 exec_lo, exec_lo, s4
.LBB2_10:
	s_delay_alu instid0(SALU_CYCLE_1)
	s_or_b32 exec_lo, exec_lo, s11
.LBB2_11:
	s_delay_alu instid0(SALU_CYCLE_1)
	s_or_b32 exec_lo, exec_lo, s9
	v_lshlrev_b32_e32 v8, 3, v0
	s_mov_b32 s3, exec_lo
	ds_store_b64 v8, v[6:7]
	s_waitcnt lgkmcnt(0)
	s_barrier
	buffer_gl0_inv
	v_cmpx_gt_u32_e32 0x200, v0
	s_cbranch_execz .LBB2_13
; %bb.12:
	ds_load_2addr_stride64_b64 v[13:16], v8 offset1:8
	s_waitcnt lgkmcnt(0)
	v_add_f64 v[6:7], v[15:16], v[13:14]
	ds_store_b64 v8, v[6:7]
.LBB2_13:
	s_or_b32 exec_lo, exec_lo, s3
	s_delay_alu instid0(SALU_CYCLE_1)
	s_mov_b32 s3, exec_lo
	s_waitcnt lgkmcnt(0)
	s_barrier
	buffer_gl0_inv
	v_cmpx_gt_u32_e32 0x100, v0
	s_cbranch_execz .LBB2_15
; %bb.14:
	ds_load_2addr_stride64_b64 v[13:16], v8 offset1:4
	s_waitcnt lgkmcnt(0)
	v_add_f64 v[6:7], v[15:16], v[13:14]
	ds_store_b64 v8, v[6:7]
.LBB2_15:
	s_or_b32 exec_lo, exec_lo, s3
	s_delay_alu instid0(SALU_CYCLE_1)
	s_mov_b32 s3, exec_lo
	;; [unrolled: 14-line block ×3, first 2 shown]
	s_waitcnt lgkmcnt(0)
	s_barrier
	buffer_gl0_inv
	v_cmpx_gt_u32_e32 64, v0
	s_cbranch_execz .LBB2_19
; %bb.18:
	ds_load_2addr_stride64_b64 v[13:16], v8 offset1:1
	s_waitcnt lgkmcnt(0)
	v_add_f64 v[6:7], v[15:16], v[13:14]
	ds_store_b64 v8, v[6:7]
.LBB2_19:
	s_or_b32 exec_lo, exec_lo, s3
	v_cmp_lt_u32_e64 s2, 31, v0
	s_mov_b32 s4, exec_lo
	s_waitcnt lgkmcnt(0)
	s_barrier
	buffer_gl0_inv
	v_cmpx_gt_u32_e32 32, v0
	s_cbranch_execz .LBB2_21
; %bb.20:
	ds_load_2addr_b64 v[13:16], v8 offset1:32
	s_waitcnt lgkmcnt(0)
	v_add_f64 v[6:7], v[15:16], v[13:14]
	ds_store_b64 v8, v[6:7]
.LBB2_21:
	s_or_b32 exec_lo, exec_lo, s4
	s_or_b32 s2, s2, vcc_lo
	s_delay_alu instid0(SALU_CYCLE_1) | instskip(NEXT) | instid1(SALU_CYCLE_1)
	s_xor_b32 s2, s2, -1
	s_and_b32 exec_lo, exec_lo, s2
	s_cbranch_execz .LBB2_26
; %bb.22:
	v_lshlrev_b32_e32 v0, 3, v12
	s_load_b64 s[0:1], s[0:1], 0x40
	v_ashrrev_i32_e32 v6, 31, v5
	s_mov_b32 s2, exec_lo
	ds_load_b64 v[7:8], v0
	v_cmpx_eq_f64_e32 0, v[3:4]
	s_xor_b32 s2, exec_lo, s2
	s_cbranch_execz .LBB2_24
; %bb.23:
	s_waitcnt lgkmcnt(0)
	v_mul_f64 v[0:1], v[1:2], v[7:8]
	v_lshlrev_b64 v[2:3], 3, v[5:6]
                                        ; implicit-def: $vgpr5
                                        ; implicit-def: $vgpr7_vgpr8
	s_delay_alu instid0(VALU_DEP_1) | instskip(NEXT) | instid1(VALU_DEP_2)
	v_add_co_u32 v2, vcc_lo, s0, v2
	v_add_co_ci_u32_e32 v3, vcc_lo, s1, v3, vcc_lo
	global_store_b64 v[2:3], v[0:1], off
                                        ; implicit-def: $vgpr3_vgpr4
                                        ; implicit-def: $vgpr1_vgpr2
.LBB2_24:
	s_and_not1_saveexec_b32 s2, s2
	s_cbranch_execz .LBB2_26
; %bb.25:
	v_lshlrev_b64 v[5:6], 3, v[5:6]
	s_waitcnt lgkmcnt(0)
	s_delay_alu instid0(VALU_DEP_1) | instskip(NEXT) | instid1(VALU_DEP_2)
	v_add_co_u32 v5, vcc_lo, s0, v5
	v_add_co_ci_u32_e32 v6, vcc_lo, s1, v6, vcc_lo
	global_load_b64 v[9:10], v[5:6], off
	s_waitcnt vmcnt(0)
	v_mul_f64 v[3:4], v[3:4], v[9:10]
	s_delay_alu instid0(VALU_DEP_1)
	v_fma_f64 v[0:1], v[1:2], v[7:8], v[3:4]
	global_store_b64 v[5:6], v[0:1], off
.LBB2_26:
	s_nop 0
	s_sendmsg sendmsg(MSG_DEALLOC_VGPRS)
	s_endpgm
	.section	.rodata,"a",@progbits
	.p2align	6, 0x0
	.amdhsa_kernel _ZN9rocsparseL12gemvi_kernelILj1024ELj32EidEEvT1_S1_NS_24const_host_device_scalarIT2_EEPKS3_lS1_S6_PKS1_S4_PS3_21rocsparse_index_base_b
		.amdhsa_group_segment_fixed_size 8192
		.amdhsa_private_segment_fixed_size 0
		.amdhsa_kernarg_size 80
		.amdhsa_user_sgpr_count 15
		.amdhsa_user_sgpr_dispatch_ptr 0
		.amdhsa_user_sgpr_queue_ptr 0
		.amdhsa_user_sgpr_kernarg_segment_ptr 1
		.amdhsa_user_sgpr_dispatch_id 0
		.amdhsa_user_sgpr_private_segment_size 0
		.amdhsa_wavefront_size32 1
		.amdhsa_uses_dynamic_stack 0
		.amdhsa_enable_private_segment 0
		.amdhsa_system_sgpr_workgroup_id_x 1
		.amdhsa_system_sgpr_workgroup_id_y 0
		.amdhsa_system_sgpr_workgroup_id_z 0
		.amdhsa_system_sgpr_workgroup_info 0
		.amdhsa_system_vgpr_workitem_id 0
		.amdhsa_next_free_vgpr 21
		.amdhsa_next_free_sgpr 16
		.amdhsa_reserve_vcc 1
		.amdhsa_float_round_mode_32 0
		.amdhsa_float_round_mode_16_64 0
		.amdhsa_float_denorm_mode_32 3
		.amdhsa_float_denorm_mode_16_64 3
		.amdhsa_dx10_clamp 1
		.amdhsa_ieee_mode 1
		.amdhsa_fp16_overflow 0
		.amdhsa_workgroup_processor_mode 1
		.amdhsa_memory_ordered 1
		.amdhsa_forward_progress 0
		.amdhsa_shared_vgpr_count 0
		.amdhsa_exception_fp_ieee_invalid_op 0
		.amdhsa_exception_fp_denorm_src 0
		.amdhsa_exception_fp_ieee_div_zero 0
		.amdhsa_exception_fp_ieee_overflow 0
		.amdhsa_exception_fp_ieee_underflow 0
		.amdhsa_exception_fp_ieee_inexact 0
		.amdhsa_exception_int_div_zero 0
	.end_amdhsa_kernel
	.section	.text._ZN9rocsparseL12gemvi_kernelILj1024ELj32EidEEvT1_S1_NS_24const_host_device_scalarIT2_EEPKS3_lS1_S6_PKS1_S4_PS3_21rocsparse_index_base_b,"axG",@progbits,_ZN9rocsparseL12gemvi_kernelILj1024ELj32EidEEvT1_S1_NS_24const_host_device_scalarIT2_EEPKS3_lS1_S6_PKS1_S4_PS3_21rocsparse_index_base_b,comdat
.Lfunc_end2:
	.size	_ZN9rocsparseL12gemvi_kernelILj1024ELj32EidEEvT1_S1_NS_24const_host_device_scalarIT2_EEPKS3_lS1_S6_PKS1_S4_PS3_21rocsparse_index_base_b, .Lfunc_end2-_ZN9rocsparseL12gemvi_kernelILj1024ELj32EidEEvT1_S1_NS_24const_host_device_scalarIT2_EEPKS3_lS1_S6_PKS1_S4_PS3_21rocsparse_index_base_b
                                        ; -- End function
	.section	.AMDGPU.csdata,"",@progbits
; Kernel info:
; codeLenInByte = 1116
; NumSgprs: 18
; NumVgprs: 21
; ScratchSize: 0
; MemoryBound: 0
; FloatMode: 240
; IeeeMode: 1
; LDSByteSize: 8192 bytes/workgroup (compile time only)
; SGPRBlocks: 2
; VGPRBlocks: 2
; NumSGPRsForWavesPerEU: 18
; NumVGPRsForWavesPerEU: 21
; Occupancy: 16
; WaveLimiterHint : 1
; COMPUTE_PGM_RSRC2:SCRATCH_EN: 0
; COMPUTE_PGM_RSRC2:USER_SGPR: 15
; COMPUTE_PGM_RSRC2:TRAP_HANDLER: 0
; COMPUTE_PGM_RSRC2:TGID_X_EN: 1
; COMPUTE_PGM_RSRC2:TGID_Y_EN: 0
; COMPUTE_PGM_RSRC2:TGID_Z_EN: 0
; COMPUTE_PGM_RSRC2:TIDIG_COMP_CNT: 0
	.section	.text._ZN9rocsparseL12gemvi_kernelILj1024ELj64EidEEvT1_S1_NS_24const_host_device_scalarIT2_EEPKS3_lS1_S6_PKS1_S4_PS3_21rocsparse_index_base_b,"axG",@progbits,_ZN9rocsparseL12gemvi_kernelILj1024ELj64EidEEvT1_S1_NS_24const_host_device_scalarIT2_EEPKS3_lS1_S6_PKS1_S4_PS3_21rocsparse_index_base_b,comdat
	.globl	_ZN9rocsparseL12gemvi_kernelILj1024ELj64EidEEvT1_S1_NS_24const_host_device_scalarIT2_EEPKS3_lS1_S6_PKS1_S4_PS3_21rocsparse_index_base_b ; -- Begin function _ZN9rocsparseL12gemvi_kernelILj1024ELj64EidEEvT1_S1_NS_24const_host_device_scalarIT2_EEPKS3_lS1_S6_PKS1_S4_PS3_21rocsparse_index_base_b
	.p2align	8
	.type	_ZN9rocsparseL12gemvi_kernelILj1024ELj64EidEEvT1_S1_NS_24const_host_device_scalarIT2_EEPKS3_lS1_S6_PKS1_S4_PS3_21rocsparse_index_base_b,@function
_ZN9rocsparseL12gemvi_kernelILj1024ELj64EidEEvT1_S1_NS_24const_host_device_scalarIT2_EEPKS3_lS1_S6_PKS1_S4_PS3_21rocsparse_index_base_b: ; @_ZN9rocsparseL12gemvi_kernelILj1024ELj64EidEEvT1_S1_NS_24const_host_device_scalarIT2_EEPKS3_lS1_S6_PKS1_S4_PS3_21rocsparse_index_base_b
; %bb.0:
	s_clause 0x2
	s_load_b64 s[8:9], s[0:1], 0x48
	s_load_b64 s[4:5], s[0:1], 0x8
	s_load_b64 s[2:3], s[0:1], 0x38
	s_waitcnt lgkmcnt(0)
	s_bitcmp1_b32 s9, 0
	v_dual_mov_b32 v1, s4 :: v_dual_mov_b32 v2, s5
	s_cselect_b32 s6, -1, 0
	s_delay_alu instid0(SALU_CYCLE_1)
	s_and_b32 vcc_lo, exec_lo, s6
	s_xor_b32 s6, s6, -1
	s_cbranch_vccnz .LBB3_2
; %bb.1:
	v_dual_mov_b32 v1, s4 :: v_dual_mov_b32 v2, s5
	flat_load_b64 v[1:2], v[1:2]
.LBB3_2:
	v_dual_mov_b32 v4, s3 :: v_dual_mov_b32 v3, s2
	s_and_not1_b32 vcc_lo, exec_lo, s6
	s_cbranch_vccnz .LBB3_4
; %bb.3:
	v_dual_mov_b32 v4, s3 :: v_dual_mov_b32 v3, s2
	flat_load_b64 v[3:4], v[3:4]
.LBB3_4:
	s_waitcnt vmcnt(0) lgkmcnt(0)
	v_cmp_neq_f64_e32 vcc_lo, 0, v[1:2]
	v_cmp_neq_f64_e64 s2, 1.0, v[3:4]
	s_delay_alu instid0(VALU_DEP_1) | instskip(NEXT) | instid1(SALU_CYCLE_1)
	s_or_b32 s2, vcc_lo, s2
	s_and_saveexec_b32 s3, s2
	s_cbranch_execz .LBB3_24
; %bb.5:
	s_load_b32 s2, s[0:1], 0x0
	v_and_b32_e32 v12, 63, v0
	v_mov_b32_e32 v6, 0
	v_mov_b32_e32 v7, 0
	s_mov_b32 s9, exec_lo
	s_delay_alu instid0(VALU_DEP_3) | instskip(SKIP_1) | instid1(VALU_DEP_1)
	v_lshl_or_b32 v5, s15, 6, v12
	s_waitcnt lgkmcnt(0)
	v_cmp_le_i32_e32 vcc_lo, s2, v5
	v_cmpx_gt_i32_e64 s2, v5
	s_cbranch_execz .LBB3_11
; %bb.6:
	s_load_b32 s10, s[0:1], 0x20
	v_mov_b32_e32 v6, 0
	v_lshrrev_b32_e32 v13, 6, v0
	v_mov_b32_e32 v7, 0
	s_mov_b32 s11, exec_lo
	s_waitcnt lgkmcnt(0)
	s_delay_alu instid0(VALU_DEP_2)
	v_cmpx_gt_i32_e64 s10, v13
	s_cbranch_execz .LBB3_10
; %bb.7:
	s_clause 0x1
	s_load_b128 s[4:7], s[0:1], 0x10
	s_load_b128 s[12:15], s[0:1], 0x28
	v_ashrrev_i32_e32 v6, 31, v5
	v_lshrrev_b32_e32 v10, 6, v0
	s_delay_alu instid0(VALU_DEP_2) | instskip(NEXT) | instid1(VALU_DEP_2)
	v_lshlrev_b64 v[8:9], 3, v[5:6]
	v_dual_mov_b32 v6, 0 :: v_dual_lshlrev_b32 v11, 3, v10
	v_dual_mov_b32 v7, 0 :: v_dual_lshlrev_b32 v10, 2, v10
	s_waitcnt lgkmcnt(0)
	s_delay_alu instid0(VALU_DEP_3) | instskip(NEXT) | instid1(VALU_DEP_1)
	v_add_co_u32 v14, s2, s4, v8
	v_add_co_ci_u32_e64 v15, s2, s5, v9, s2
	v_add_co_u32 v8, s2, s12, v11
	s_delay_alu instid0(VALU_DEP_1) | instskip(SKIP_1) | instid1(VALU_DEP_1)
	v_add_co_ci_u32_e64 v9, null, s13, 0, s2
	v_add_co_u32 v10, s2, s14, v10
	v_add_co_ci_u32_e64 v11, null, s15, 0, s2
	s_mov_b32 s4, 0
	s_set_inst_prefetch_distance 0x1
	.p2align	6
.LBB3_8:                                ; =>This Inner Loop Header: Depth=1
	global_load_b32 v16, v[10:11], off
	v_add_nc_u32_e32 v13, 16, v13
	v_add_co_u32 v10, s3, v10, 64
	s_delay_alu instid0(VALU_DEP_1) | instskip(SKIP_2) | instid1(VALU_DEP_1)
	v_add_co_ci_u32_e64 v11, s3, 0, v11, s3
	s_waitcnt vmcnt(0)
	v_subrev_nc_u32_e32 v18, s8, v16
	v_ashrrev_i32_e32 v19, 31, v18
	v_mul_lo_u32 v20, v18, s7
	v_mad_u64_u32 v[16:17], null, v18, s6, 0
	s_delay_alu instid0(VALU_DEP_3) | instskip(NEXT) | instid1(VALU_DEP_1)
	v_mul_lo_u32 v18, v19, s6
	v_add3_u32 v17, v17, v20, v18
	s_delay_alu instid0(VALU_DEP_1) | instskip(NEXT) | instid1(VALU_DEP_1)
	v_lshlrev_b64 v[16:17], 3, v[16:17]
	v_add_co_u32 v16, s2, v14, v16
	s_delay_alu instid0(VALU_DEP_1) | instskip(SKIP_3) | instid1(VALU_DEP_1)
	v_add_co_ci_u32_e64 v17, s2, v15, v17, s2
	global_load_b64 v[18:19], v[8:9], off
	global_load_b64 v[16:17], v[16:17], off
	v_add_co_u32 v8, s2, 0x80, v8
	v_add_co_ci_u32_e64 v9, s2, 0, v9, s2
	v_cmp_le_i32_e64 s2, s10, v13
	s_delay_alu instid0(VALU_DEP_1)
	s_or_b32 s4, s2, s4
	s_waitcnt vmcnt(0)
	v_fma_f64 v[6:7], v[18:19], v[16:17], v[6:7]
	s_and_not1_b32 exec_lo, exec_lo, s4
	s_cbranch_execnz .LBB3_8
; %bb.9:
	s_set_inst_prefetch_distance 0x2
	s_or_b32 exec_lo, exec_lo, s4
.LBB3_10:
	s_delay_alu instid0(SALU_CYCLE_1)
	s_or_b32 exec_lo, exec_lo, s11
.LBB3_11:
	s_delay_alu instid0(SALU_CYCLE_1)
	s_or_b32 exec_lo, exec_lo, s9
	v_lshlrev_b32_e32 v8, 3, v0
	s_mov_b32 s3, exec_lo
	ds_store_b64 v8, v[6:7]
	s_waitcnt lgkmcnt(0)
	s_barrier
	buffer_gl0_inv
	v_cmpx_gt_u32_e32 0x200, v0
	s_cbranch_execz .LBB3_13
; %bb.12:
	ds_load_2addr_stride64_b64 v[13:16], v8 offset1:8
	s_waitcnt lgkmcnt(0)
	v_add_f64 v[6:7], v[15:16], v[13:14]
	ds_store_b64 v8, v[6:7]
.LBB3_13:
	s_or_b32 exec_lo, exec_lo, s3
	s_delay_alu instid0(SALU_CYCLE_1)
	s_mov_b32 s3, exec_lo
	s_waitcnt lgkmcnt(0)
	s_barrier
	buffer_gl0_inv
	v_cmpx_gt_u32_e32 0x100, v0
	s_cbranch_execz .LBB3_15
; %bb.14:
	ds_load_2addr_stride64_b64 v[13:16], v8 offset1:4
	s_waitcnt lgkmcnt(0)
	v_add_f64 v[6:7], v[15:16], v[13:14]
	ds_store_b64 v8, v[6:7]
.LBB3_15:
	s_or_b32 exec_lo, exec_lo, s3
	s_delay_alu instid0(SALU_CYCLE_1)
	s_mov_b32 s3, exec_lo
	s_waitcnt lgkmcnt(0)
	s_barrier
	buffer_gl0_inv
	v_cmpx_gt_u32_e32 0x80, v0
	s_cbranch_execz .LBB3_17
; %bb.16:
	ds_load_2addr_stride64_b64 v[13:16], v8 offset1:2
	s_waitcnt lgkmcnt(0)
	v_add_f64 v[6:7], v[15:16], v[13:14]
	ds_store_b64 v8, v[6:7]
.LBB3_17:
	s_or_b32 exec_lo, exec_lo, s3
	v_cmp_lt_u32_e64 s2, 63, v0
	s_mov_b32 s4, exec_lo
	s_waitcnt lgkmcnt(0)
	s_barrier
	buffer_gl0_inv
	v_cmpx_gt_u32_e32 64, v0
	s_cbranch_execz .LBB3_19
; %bb.18:
	ds_load_2addr_stride64_b64 v[13:16], v8 offset1:1
	s_waitcnt lgkmcnt(0)
	v_add_f64 v[6:7], v[15:16], v[13:14]
	ds_store_b64 v8, v[6:7]
.LBB3_19:
	s_or_b32 exec_lo, exec_lo, s4
	s_or_b32 s2, s2, vcc_lo
	s_delay_alu instid0(SALU_CYCLE_1) | instskip(NEXT) | instid1(SALU_CYCLE_1)
	s_xor_b32 s2, s2, -1
	s_and_b32 exec_lo, exec_lo, s2
	s_cbranch_execz .LBB3_24
; %bb.20:
	v_lshlrev_b32_e32 v0, 3, v12
	s_load_b64 s[0:1], s[0:1], 0x40
	v_ashrrev_i32_e32 v6, 31, v5
	s_mov_b32 s2, exec_lo
	ds_load_b64 v[7:8], v0
	v_cmpx_eq_f64_e32 0, v[3:4]
	s_xor_b32 s2, exec_lo, s2
	s_cbranch_execz .LBB3_22
; %bb.21:
	s_waitcnt lgkmcnt(0)
	v_mul_f64 v[0:1], v[1:2], v[7:8]
	v_lshlrev_b64 v[2:3], 3, v[5:6]
                                        ; implicit-def: $vgpr5
                                        ; implicit-def: $vgpr7_vgpr8
	s_delay_alu instid0(VALU_DEP_1) | instskip(NEXT) | instid1(VALU_DEP_2)
	v_add_co_u32 v2, vcc_lo, s0, v2
	v_add_co_ci_u32_e32 v3, vcc_lo, s1, v3, vcc_lo
	global_store_b64 v[2:3], v[0:1], off
                                        ; implicit-def: $vgpr3_vgpr4
                                        ; implicit-def: $vgpr1_vgpr2
.LBB3_22:
	s_and_not1_saveexec_b32 s2, s2
	s_cbranch_execz .LBB3_24
; %bb.23:
	v_lshlrev_b64 v[5:6], 3, v[5:6]
	s_waitcnt lgkmcnt(0)
	s_delay_alu instid0(VALU_DEP_1) | instskip(NEXT) | instid1(VALU_DEP_2)
	v_add_co_u32 v5, vcc_lo, s0, v5
	v_add_co_ci_u32_e32 v6, vcc_lo, s1, v6, vcc_lo
	global_load_b64 v[9:10], v[5:6], off
	s_waitcnt vmcnt(0)
	v_mul_f64 v[3:4], v[3:4], v[9:10]
	s_delay_alu instid0(VALU_DEP_1)
	v_fma_f64 v[0:1], v[1:2], v[7:8], v[3:4]
	global_store_b64 v[5:6], v[0:1], off
.LBB3_24:
	s_nop 0
	s_sendmsg sendmsg(MSG_DEALLOC_VGPRS)
	s_endpgm
	.section	.rodata,"a",@progbits
	.p2align	6, 0x0
	.amdhsa_kernel _ZN9rocsparseL12gemvi_kernelILj1024ELj64EidEEvT1_S1_NS_24const_host_device_scalarIT2_EEPKS3_lS1_S6_PKS1_S4_PS3_21rocsparse_index_base_b
		.amdhsa_group_segment_fixed_size 8192
		.amdhsa_private_segment_fixed_size 0
		.amdhsa_kernarg_size 80
		.amdhsa_user_sgpr_count 15
		.amdhsa_user_sgpr_dispatch_ptr 0
		.amdhsa_user_sgpr_queue_ptr 0
		.amdhsa_user_sgpr_kernarg_segment_ptr 1
		.amdhsa_user_sgpr_dispatch_id 0
		.amdhsa_user_sgpr_private_segment_size 0
		.amdhsa_wavefront_size32 1
		.amdhsa_uses_dynamic_stack 0
		.amdhsa_enable_private_segment 0
		.amdhsa_system_sgpr_workgroup_id_x 1
		.amdhsa_system_sgpr_workgroup_id_y 0
		.amdhsa_system_sgpr_workgroup_id_z 0
		.amdhsa_system_sgpr_workgroup_info 0
		.amdhsa_system_vgpr_workitem_id 0
		.amdhsa_next_free_vgpr 21
		.amdhsa_next_free_sgpr 16
		.amdhsa_reserve_vcc 1
		.amdhsa_float_round_mode_32 0
		.amdhsa_float_round_mode_16_64 0
		.amdhsa_float_denorm_mode_32 3
		.amdhsa_float_denorm_mode_16_64 3
		.amdhsa_dx10_clamp 1
		.amdhsa_ieee_mode 1
		.amdhsa_fp16_overflow 0
		.amdhsa_workgroup_processor_mode 1
		.amdhsa_memory_ordered 1
		.amdhsa_forward_progress 0
		.amdhsa_shared_vgpr_count 0
		.amdhsa_exception_fp_ieee_invalid_op 0
		.amdhsa_exception_fp_denorm_src 0
		.amdhsa_exception_fp_ieee_div_zero 0
		.amdhsa_exception_fp_ieee_overflow 0
		.amdhsa_exception_fp_ieee_underflow 0
		.amdhsa_exception_fp_ieee_inexact 0
		.amdhsa_exception_int_div_zero 0
	.end_amdhsa_kernel
	.section	.text._ZN9rocsparseL12gemvi_kernelILj1024ELj64EidEEvT1_S1_NS_24const_host_device_scalarIT2_EEPKS3_lS1_S6_PKS1_S4_PS3_21rocsparse_index_base_b,"axG",@progbits,_ZN9rocsparseL12gemvi_kernelILj1024ELj64EidEEvT1_S1_NS_24const_host_device_scalarIT2_EEPKS3_lS1_S6_PKS1_S4_PS3_21rocsparse_index_base_b,comdat
.Lfunc_end3:
	.size	_ZN9rocsparseL12gemvi_kernelILj1024ELj64EidEEvT1_S1_NS_24const_host_device_scalarIT2_EEPKS3_lS1_S6_PKS1_S4_PS3_21rocsparse_index_base_b, .Lfunc_end3-_ZN9rocsparseL12gemvi_kernelILj1024ELj64EidEEvT1_S1_NS_24const_host_device_scalarIT2_EEPKS3_lS1_S6_PKS1_S4_PS3_21rocsparse_index_base_b
                                        ; -- End function
	.section	.AMDGPU.csdata,"",@progbits
; Kernel info:
; codeLenInByte = 1048
; NumSgprs: 18
; NumVgprs: 21
; ScratchSize: 0
; MemoryBound: 0
; FloatMode: 240
; IeeeMode: 1
; LDSByteSize: 8192 bytes/workgroup (compile time only)
; SGPRBlocks: 2
; VGPRBlocks: 2
; NumSGPRsForWavesPerEU: 18
; NumVGPRsForWavesPerEU: 21
; Occupancy: 16
; WaveLimiterHint : 1
; COMPUTE_PGM_RSRC2:SCRATCH_EN: 0
; COMPUTE_PGM_RSRC2:USER_SGPR: 15
; COMPUTE_PGM_RSRC2:TRAP_HANDLER: 0
; COMPUTE_PGM_RSRC2:TGID_X_EN: 1
; COMPUTE_PGM_RSRC2:TGID_Y_EN: 0
; COMPUTE_PGM_RSRC2:TGID_Z_EN: 0
; COMPUTE_PGM_RSRC2:TIDIG_COMP_CNT: 0
	.section	.text._ZN9rocsparseL12gemvi_kernelILj1024ELj32Ei21rocsparse_complex_numIfEEEvT1_S3_NS_24const_host_device_scalarIT2_EEPKS5_lS3_S8_PKS3_S6_PS5_21rocsparse_index_base_b,"axG",@progbits,_ZN9rocsparseL12gemvi_kernelILj1024ELj32Ei21rocsparse_complex_numIfEEEvT1_S3_NS_24const_host_device_scalarIT2_EEPKS5_lS3_S8_PKS3_S6_PS5_21rocsparse_index_base_b,comdat
	.globl	_ZN9rocsparseL12gemvi_kernelILj1024ELj32Ei21rocsparse_complex_numIfEEEvT1_S3_NS_24const_host_device_scalarIT2_EEPKS5_lS3_S8_PKS3_S6_PS5_21rocsparse_index_base_b ; -- Begin function _ZN9rocsparseL12gemvi_kernelILj1024ELj32Ei21rocsparse_complex_numIfEEEvT1_S3_NS_24const_host_device_scalarIT2_EEPKS5_lS3_S8_PKS3_S6_PS5_21rocsparse_index_base_b
	.p2align	8
	.type	_ZN9rocsparseL12gemvi_kernelILj1024ELj32Ei21rocsparse_complex_numIfEEEvT1_S3_NS_24const_host_device_scalarIT2_EEPKS5_lS3_S8_PKS3_S6_PS5_21rocsparse_index_base_b,@function
_ZN9rocsparseL12gemvi_kernelILj1024ELj32Ei21rocsparse_complex_numIfEEEvT1_S3_NS_24const_host_device_scalarIT2_EEPKS5_lS3_S8_PKS3_S6_PS5_21rocsparse_index_base_b: ; @_ZN9rocsparseL12gemvi_kernelILj1024ELj32Ei21rocsparse_complex_numIfEEEvT1_S3_NS_24const_host_device_scalarIT2_EEPKS5_lS3_S8_PKS3_S6_PS5_21rocsparse_index_base_b
; %bb.0:
	s_clause 0x2
	s_load_b64 s[8:9], s[0:1], 0x48
	s_load_b64 s[4:5], s[0:1], 0x8
	;; [unrolled: 1-line block ×3, first 2 shown]
	s_waitcnt lgkmcnt(0)
	s_bitcmp1_b32 s9, 0
	v_mov_b32_e32 v8, s4
	s_cselect_b32 s6, -1, 0
	s_delay_alu instid0(SALU_CYCLE_1)
	s_and_b32 vcc_lo, exec_lo, s6
	s_xor_b32 s6, s6, -1
	s_cbranch_vccz .LBB4_30
; %bb.1:
	v_cndmask_b32_e64 v1, 0, 1, s6
	v_mov_b32_e32 v9, s5
	s_and_not1_b32 vcc_lo, exec_lo, s6
	s_cbranch_vccz .LBB4_31
.LBB4_2:
	s_delay_alu instid0(VALU_DEP_2)
	v_cmp_ne_u32_e32 vcc_lo, 1, v1
	v_mov_b32_e32 v10, s2
	s_cbranch_vccz .LBB4_32
.LBB4_3:
	v_cmp_ne_u32_e32 vcc_lo, 1, v1
	v_mov_b32_e32 v11, s3
	s_cbranch_vccnz .LBB4_5
.LBB4_4:
	v_dual_mov_b32 v1, s2 :: v_dual_mov_b32 v2, s3
	flat_load_b32 v11, v[1:2] offset:4
.LBB4_5:
	s_waitcnt vmcnt(0) lgkmcnt(0)
	v_cmp_eq_f32_e32 vcc_lo, 0, v8
	v_cmp_eq_f32_e64 s2, 0, v9
	s_delay_alu instid0(VALU_DEP_1)
	s_and_b32 s4, vcc_lo, s2
	s_mov_b32 s2, -1
	s_and_saveexec_b32 s3, s4
; %bb.6:
	v_cmp_neq_f32_e32 vcc_lo, 1.0, v10
	v_cmp_neq_f32_e64 s2, 0, v11
	s_delay_alu instid0(VALU_DEP_1) | instskip(NEXT) | instid1(SALU_CYCLE_1)
	s_or_b32 s2, vcc_lo, s2
	s_or_not1_b32 s2, s2, exec_lo
; %bb.7:
	s_or_b32 exec_lo, exec_lo, s3
	s_and_saveexec_b32 s3, s2
	s_cbranch_execz .LBB4_29
; %bb.8:
	s_load_b32 s2, s[0:1], 0x0
	v_mov_b32_e32 v2, 0
	v_and_b32_e32 v12, 31, v0
	s_mov_b32 s9, exec_lo
	s_delay_alu instid0(VALU_DEP_2) | instskip(NEXT) | instid1(VALU_DEP_2)
	v_mov_b32_e32 v3, v2
	v_lshl_or_b32 v1, s15, 5, v12
	s_waitcnt lgkmcnt(0)
	s_delay_alu instid0(VALU_DEP_1)
	v_cmp_le_i32_e32 vcc_lo, s2, v1
	v_cmpx_gt_i32_e64 s2, v1
	s_cbranch_execz .LBB4_14
; %bb.9:
	s_load_b32 s10, s[0:1], 0x20
	v_lshrrev_b32_e32 v13, 5, v0
	v_dual_mov_b32 v3, 0 :: v_dual_mov_b32 v2, 0
	s_mov_b32 s11, exec_lo
	s_waitcnt lgkmcnt(0)
	s_delay_alu instid0(VALU_DEP_2)
	v_cmpx_gt_i32_e64 s10, v13
	s_cbranch_execz .LBB4_13
; %bb.10:
	s_clause 0x1
	s_load_b128 s[4:7], s[0:1], 0x10
	s_load_b128 s[12:15], s[0:1], 0x28
	v_ashrrev_i32_e32 v2, 31, v1
	v_lshrrev_b32_e32 v6, 5, v0
	v_mov_b32_e32 v3, 0
	s_delay_alu instid0(VALU_DEP_3) | instskip(NEXT) | instid1(VALU_DEP_3)
	v_lshlrev_b64 v[4:5], 3, v[1:2]
	v_lshlrev_b32_e32 v2, 3, v6
	v_lshlrev_b32_e32 v6, 2, v6
	s_waitcnt lgkmcnt(0)
	s_delay_alu instid0(VALU_DEP_3) | instskip(NEXT) | instid1(VALU_DEP_1)
	v_add_co_u32 v14, s2, s4, v4
	v_add_co_ci_u32_e64 v15, s2, s5, v5, s2
	v_add_co_u32 v2, s2, v2, s12
	s_delay_alu instid0(VALU_DEP_1) | instskip(SKIP_1) | instid1(VALU_DEP_1)
	v_add_co_ci_u32_e64 v7, null, 0, s13, s2
	v_add_co_u32 v4, s2, s14, v6
	v_add_co_ci_u32_e64 v5, null, s15, 0, s2
	s_delay_alu instid0(VALU_DEP_4) | instskip(NEXT) | instid1(VALU_DEP_1)
	v_add_co_u32 v6, s2, v2, 4
	v_add_co_ci_u32_e64 v7, s2, 0, v7, s2
	v_mov_b32_e32 v2, v3
	s_mov_b32 s4, 0
	s_set_inst_prefetch_distance 0x1
	.p2align	6
.LBB4_11:                               ; =>This Inner Loop Header: Depth=1
	global_load_b32 v16, v[4:5], off
	s_waitcnt vmcnt(0)
	v_subrev_nc_u32_e32 v18, s8, v16
	s_delay_alu instid0(VALU_DEP_1) | instskip(SKIP_2) | instid1(VALU_DEP_3)
	v_ashrrev_i32_e32 v19, 31, v18
	v_mul_lo_u32 v20, v18, s7
	v_mad_u64_u32 v[16:17], null, v18, s6, 0
	v_mul_lo_u32 v18, v19, s6
	s_delay_alu instid0(VALU_DEP_1) | instskip(NEXT) | instid1(VALU_DEP_1)
	v_add3_u32 v17, v17, v20, v18
	v_lshlrev_b64 v[16:17], 3, v[16:17]
	s_delay_alu instid0(VALU_DEP_1) | instskip(NEXT) | instid1(VALU_DEP_1)
	v_add_co_u32 v16, s2, v14, v16
	v_add_co_ci_u32_e64 v17, s2, v15, v17, s2
	global_load_b64 v[18:19], v[6:7], off offset:-4
	global_load_b64 v[16:17], v[16:17], off
	v_add_nc_u32_e32 v13, 32, v13
	v_add_co_u32 v6, s2, 0x100, v6
	s_delay_alu instid0(VALU_DEP_1) | instskip(SKIP_1) | instid1(VALU_DEP_1)
	v_add_co_ci_u32_e64 v7, s2, 0, v7, s2
	v_add_co_u32 v4, s2, 0x80, v4
	v_add_co_ci_u32_e64 v5, s2, 0, v5, s2
	s_waitcnt vmcnt(0)
	v_fmac_f32_e32 v2, v18, v16
	v_fmac_f32_e32 v3, v19, v16
	v_cmp_le_i32_e64 s3, s10, v13
	s_delay_alu instid0(VALU_DEP_3) | instskip(NEXT) | instid1(VALU_DEP_3)
	v_fma_f32 v2, -v19, v17, v2
	v_fmac_f32_e32 v3, v18, v17
	s_delay_alu instid0(VALU_DEP_3) | instskip(NEXT) | instid1(SALU_CYCLE_1)
	s_or_b32 s4, s3, s4
	s_and_not1_b32 exec_lo, exec_lo, s4
	s_cbranch_execnz .LBB4_11
; %bb.12:
	s_set_inst_prefetch_distance 0x2
	s_or_b32 exec_lo, exec_lo, s4
.LBB4_13:
	s_delay_alu instid0(SALU_CYCLE_1)
	s_or_b32 exec_lo, exec_lo, s11
.LBB4_14:
	s_delay_alu instid0(SALU_CYCLE_1)
	s_or_b32 exec_lo, exec_lo, s9
	v_lshlrev_b32_e32 v4, 3, v0
	s_mov_b32 s3, exec_lo
	ds_store_b64 v4, v[2:3]
	s_waitcnt lgkmcnt(0)
	s_barrier
	buffer_gl0_inv
	v_cmpx_gt_u32_e32 0x200, v0
	s_cbranch_execz .LBB4_16
; %bb.15:
	ds_load_2addr_stride64_b64 v[13:16], v4 offset1:8
	s_waitcnt lgkmcnt(0)
	v_dual_add_f32 v2, v15, v13 :: v_dual_add_f32 v3, v16, v14
	ds_store_b64 v4, v[2:3]
.LBB4_16:
	s_or_b32 exec_lo, exec_lo, s3
	s_delay_alu instid0(SALU_CYCLE_1)
	s_mov_b32 s3, exec_lo
	s_waitcnt lgkmcnt(0)
	s_barrier
	buffer_gl0_inv
	v_cmpx_gt_u32_e32 0x100, v0
	s_cbranch_execz .LBB4_18
; %bb.17:
	ds_load_2addr_stride64_b64 v[13:16], v4 offset1:4
	s_waitcnt lgkmcnt(0)
	v_dual_add_f32 v2, v15, v13 :: v_dual_add_f32 v3, v16, v14
	ds_store_b64 v4, v[2:3]
.LBB4_18:
	s_or_b32 exec_lo, exec_lo, s3
	s_delay_alu instid0(SALU_CYCLE_1)
	s_mov_b32 s3, exec_lo
	;; [unrolled: 14-line block ×3, first 2 shown]
	s_waitcnt lgkmcnt(0)
	s_barrier
	buffer_gl0_inv
	v_cmpx_gt_u32_e32 64, v0
	s_cbranch_execz .LBB4_22
; %bb.21:
	ds_load_2addr_stride64_b64 v[13:16], v4 offset1:1
	s_waitcnt lgkmcnt(0)
	v_dual_add_f32 v2, v15, v13 :: v_dual_add_f32 v3, v16, v14
	ds_store_b64 v4, v[2:3]
.LBB4_22:
	s_or_b32 exec_lo, exec_lo, s3
	v_cmp_lt_u32_e64 s2, 31, v0
	s_mov_b32 s4, exec_lo
	s_waitcnt lgkmcnt(0)
	s_barrier
	buffer_gl0_inv
	v_cmpx_gt_u32_e32 32, v0
	s_cbranch_execz .LBB4_24
; %bb.23:
	ds_load_2addr_b64 v[13:16], v4 offset1:32
	s_waitcnt lgkmcnt(0)
	v_dual_add_f32 v2, v15, v13 :: v_dual_add_f32 v3, v16, v14
	ds_store_b64 v4, v[2:3]
.LBB4_24:
	s_or_b32 exec_lo, exec_lo, s4
	s_or_b32 s2, s2, vcc_lo
	s_delay_alu instid0(SALU_CYCLE_1) | instskip(NEXT) | instid1(SALU_CYCLE_1)
	s_xor_b32 s2, s2, -1
	s_and_b32 exec_lo, exec_lo, s2
	s_cbranch_execz .LBB4_29
; %bb.25:
	v_lshlrev_b32_e32 v0, 3, v12
	s_load_b64 s[0:1], s[0:1], 0x40
	v_ashrrev_i32_e32 v2, 31, v1
	s_mov_b32 s2, exec_lo
	ds_load_b64 v[3:4], v0
	v_or_b32_e32 v0, v10, v11
	s_delay_alu instid0(VALU_DEP_1) | instskip(NEXT) | instid1(VALU_DEP_1)
	v_and_b32_e32 v0, 0x7fffffff, v0
	v_cmpx_eq_u32_e32 0, v0
	s_xor_b32 s2, exec_lo, s2
	s_cbranch_execz .LBB4_27
; %bb.26:
	v_lshlrev_b64 v[0:1], 3, v[1:2]
	s_waitcnt lgkmcnt(0)
	v_mul_f32_e64 v5, v4, -v9
	v_mul_f32_e32 v6, v4, v8
                                        ; implicit-def: $vgpr11
                                        ; implicit-def: $vgpr10
	s_delay_alu instid0(VALU_DEP_2) | instskip(NEXT) | instid1(VALU_DEP_4)
	v_fmac_f32_e32 v5, v8, v3
	v_add_co_u32 v0, vcc_lo, s0, v0
	s_delay_alu instid0(VALU_DEP_3)
	v_fmac_f32_e32 v6, v9, v3
	v_add_co_ci_u32_e32 v1, vcc_lo, s1, v1, vcc_lo
                                        ; implicit-def: $vgpr8
                                        ; implicit-def: $vgpr3_vgpr4
                                        ; implicit-def: $vgpr9
	global_store_b64 v[0:1], v[5:6], off
                                        ; implicit-def: $vgpr1
.LBB4_27:
	s_and_not1_saveexec_b32 s2, s2
	s_cbranch_execz .LBB4_29
; %bb.28:
	v_lshlrev_b64 v[0:1], 3, v[1:2]
	s_waitcnt lgkmcnt(0)
	s_delay_alu instid0(VALU_DEP_1) | instskip(NEXT) | instid1(VALU_DEP_2)
	v_add_co_u32 v0, vcc_lo, s0, v0
	v_add_co_ci_u32_e32 v1, vcc_lo, s1, v1, vcc_lo
	global_load_b64 v[5:6], v[0:1], off
	s_waitcnt vmcnt(0)
	v_mul_f32_e64 v2, v6, -v11
	v_mul_f32_e32 v6, v6, v10
	s_delay_alu instid0(VALU_DEP_2) | instskip(NEXT) | instid1(VALU_DEP_2)
	v_fmac_f32_e32 v2, v10, v5
	v_fmac_f32_e32 v6, v11, v5
	s_delay_alu instid0(VALU_DEP_2) | instskip(NEXT) | instid1(VALU_DEP_2)
	v_fmac_f32_e32 v2, v8, v3
	v_fmac_f32_e32 v6, v9, v3
	s_delay_alu instid0(VALU_DEP_2) | instskip(NEXT) | instid1(VALU_DEP_2)
	v_fma_f32 v5, -v9, v4, v2
	v_fmac_f32_e32 v6, v8, v4
	global_store_b64 v[0:1], v[5:6], off
.LBB4_29:
	s_nop 0
	s_sendmsg sendmsg(MSG_DEALLOC_VGPRS)
	s_endpgm
.LBB4_30:
	v_dual_mov_b32 v1, s4 :: v_dual_mov_b32 v2, s5
	flat_load_b32 v8, v[1:2]
	v_cndmask_b32_e64 v1, 0, 1, s6
	v_mov_b32_e32 v9, s5
	s_and_not1_b32 vcc_lo, exec_lo, s6
	s_cbranch_vccnz .LBB4_2
.LBB4_31:
	v_dual_mov_b32 v2, s4 :: v_dual_mov_b32 v3, s5
	flat_load_b32 v9, v[2:3] offset:4
	v_cmp_ne_u32_e32 vcc_lo, 1, v1
	v_mov_b32_e32 v10, s2
	s_cbranch_vccnz .LBB4_3
.LBB4_32:
	v_dual_mov_b32 v2, s2 :: v_dual_mov_b32 v3, s3
	flat_load_b32 v10, v[2:3]
	v_cmp_ne_u32_e32 vcc_lo, 1, v1
	v_mov_b32_e32 v11, s3
	s_cbranch_vccz .LBB4_4
	s_branch .LBB4_5
	.section	.rodata,"a",@progbits
	.p2align	6, 0x0
	.amdhsa_kernel _ZN9rocsparseL12gemvi_kernelILj1024ELj32Ei21rocsparse_complex_numIfEEEvT1_S3_NS_24const_host_device_scalarIT2_EEPKS5_lS3_S8_PKS3_S6_PS5_21rocsparse_index_base_b
		.amdhsa_group_segment_fixed_size 8192
		.amdhsa_private_segment_fixed_size 0
		.amdhsa_kernarg_size 80
		.amdhsa_user_sgpr_count 15
		.amdhsa_user_sgpr_dispatch_ptr 0
		.amdhsa_user_sgpr_queue_ptr 0
		.amdhsa_user_sgpr_kernarg_segment_ptr 1
		.amdhsa_user_sgpr_dispatch_id 0
		.amdhsa_user_sgpr_private_segment_size 0
		.amdhsa_wavefront_size32 1
		.amdhsa_uses_dynamic_stack 0
		.amdhsa_enable_private_segment 0
		.amdhsa_system_sgpr_workgroup_id_x 1
		.amdhsa_system_sgpr_workgroup_id_y 0
		.amdhsa_system_sgpr_workgroup_id_z 0
		.amdhsa_system_sgpr_workgroup_info 0
		.amdhsa_system_vgpr_workitem_id 0
		.amdhsa_next_free_vgpr 21
		.amdhsa_next_free_sgpr 16
		.amdhsa_reserve_vcc 1
		.amdhsa_float_round_mode_32 0
		.amdhsa_float_round_mode_16_64 0
		.amdhsa_float_denorm_mode_32 3
		.amdhsa_float_denorm_mode_16_64 3
		.amdhsa_dx10_clamp 1
		.amdhsa_ieee_mode 1
		.amdhsa_fp16_overflow 0
		.amdhsa_workgroup_processor_mode 1
		.amdhsa_memory_ordered 1
		.amdhsa_forward_progress 0
		.amdhsa_shared_vgpr_count 0
		.amdhsa_exception_fp_ieee_invalid_op 0
		.amdhsa_exception_fp_denorm_src 0
		.amdhsa_exception_fp_ieee_div_zero 0
		.amdhsa_exception_fp_ieee_overflow 0
		.amdhsa_exception_fp_ieee_underflow 0
		.amdhsa_exception_fp_ieee_inexact 0
		.amdhsa_exception_int_div_zero 0
	.end_amdhsa_kernel
	.section	.text._ZN9rocsparseL12gemvi_kernelILj1024ELj32Ei21rocsparse_complex_numIfEEEvT1_S3_NS_24const_host_device_scalarIT2_EEPKS5_lS3_S8_PKS3_S6_PS5_21rocsparse_index_base_b,"axG",@progbits,_ZN9rocsparseL12gemvi_kernelILj1024ELj32Ei21rocsparse_complex_numIfEEEvT1_S3_NS_24const_host_device_scalarIT2_EEPKS5_lS3_S8_PKS3_S6_PS5_21rocsparse_index_base_b,comdat
.Lfunc_end4:
	.size	_ZN9rocsparseL12gemvi_kernelILj1024ELj32Ei21rocsparse_complex_numIfEEEvT1_S3_NS_24const_host_device_scalarIT2_EEPKS5_lS3_S8_PKS3_S6_PS5_21rocsparse_index_base_b, .Lfunc_end4-_ZN9rocsparseL12gemvi_kernelILj1024ELj32Ei21rocsparse_complex_numIfEEEvT1_S3_NS_24const_host_device_scalarIT2_EEPKS5_lS3_S8_PKS3_S6_PS5_21rocsparse_index_base_b
                                        ; -- End function
	.section	.AMDGPU.csdata,"",@progbits
; Kernel info:
; codeLenInByte = 1364
; NumSgprs: 18
; NumVgprs: 21
; ScratchSize: 0
; MemoryBound: 0
; FloatMode: 240
; IeeeMode: 1
; LDSByteSize: 8192 bytes/workgroup (compile time only)
; SGPRBlocks: 2
; VGPRBlocks: 2
; NumSGPRsForWavesPerEU: 18
; NumVGPRsForWavesPerEU: 21
; Occupancy: 16
; WaveLimiterHint : 1
; COMPUTE_PGM_RSRC2:SCRATCH_EN: 0
; COMPUTE_PGM_RSRC2:USER_SGPR: 15
; COMPUTE_PGM_RSRC2:TRAP_HANDLER: 0
; COMPUTE_PGM_RSRC2:TGID_X_EN: 1
; COMPUTE_PGM_RSRC2:TGID_Y_EN: 0
; COMPUTE_PGM_RSRC2:TGID_Z_EN: 0
; COMPUTE_PGM_RSRC2:TIDIG_COMP_CNT: 0
	.section	.text._ZN9rocsparseL12gemvi_kernelILj1024ELj64Ei21rocsparse_complex_numIfEEEvT1_S3_NS_24const_host_device_scalarIT2_EEPKS5_lS3_S8_PKS3_S6_PS5_21rocsparse_index_base_b,"axG",@progbits,_ZN9rocsparseL12gemvi_kernelILj1024ELj64Ei21rocsparse_complex_numIfEEEvT1_S3_NS_24const_host_device_scalarIT2_EEPKS5_lS3_S8_PKS3_S6_PS5_21rocsparse_index_base_b,comdat
	.globl	_ZN9rocsparseL12gemvi_kernelILj1024ELj64Ei21rocsparse_complex_numIfEEEvT1_S3_NS_24const_host_device_scalarIT2_EEPKS5_lS3_S8_PKS3_S6_PS5_21rocsparse_index_base_b ; -- Begin function _ZN9rocsparseL12gemvi_kernelILj1024ELj64Ei21rocsparse_complex_numIfEEEvT1_S3_NS_24const_host_device_scalarIT2_EEPKS5_lS3_S8_PKS3_S6_PS5_21rocsparse_index_base_b
	.p2align	8
	.type	_ZN9rocsparseL12gemvi_kernelILj1024ELj64Ei21rocsparse_complex_numIfEEEvT1_S3_NS_24const_host_device_scalarIT2_EEPKS5_lS3_S8_PKS3_S6_PS5_21rocsparse_index_base_b,@function
_ZN9rocsparseL12gemvi_kernelILj1024ELj64Ei21rocsparse_complex_numIfEEEvT1_S3_NS_24const_host_device_scalarIT2_EEPKS5_lS3_S8_PKS3_S6_PS5_21rocsparse_index_base_b: ; @_ZN9rocsparseL12gemvi_kernelILj1024ELj64Ei21rocsparse_complex_numIfEEEvT1_S3_NS_24const_host_device_scalarIT2_EEPKS5_lS3_S8_PKS3_S6_PS5_21rocsparse_index_base_b
; %bb.0:
	s_clause 0x2
	s_load_b64 s[8:9], s[0:1], 0x48
	s_load_b64 s[4:5], s[0:1], 0x8
	;; [unrolled: 1-line block ×3, first 2 shown]
	s_waitcnt lgkmcnt(0)
	s_bitcmp1_b32 s9, 0
	v_mov_b32_e32 v8, s4
	s_cselect_b32 s6, -1, 0
	s_delay_alu instid0(SALU_CYCLE_1)
	s_and_b32 vcc_lo, exec_lo, s6
	s_xor_b32 s6, s6, -1
	s_cbranch_vccz .LBB5_28
; %bb.1:
	v_cndmask_b32_e64 v1, 0, 1, s6
	v_mov_b32_e32 v9, s5
	s_and_not1_b32 vcc_lo, exec_lo, s6
	s_cbranch_vccz .LBB5_29
.LBB5_2:
	s_delay_alu instid0(VALU_DEP_2)
	v_cmp_ne_u32_e32 vcc_lo, 1, v1
	v_mov_b32_e32 v10, s2
	s_cbranch_vccz .LBB5_30
.LBB5_3:
	v_cmp_ne_u32_e32 vcc_lo, 1, v1
	v_mov_b32_e32 v11, s3
	s_cbranch_vccnz .LBB5_5
.LBB5_4:
	v_dual_mov_b32 v1, s2 :: v_dual_mov_b32 v2, s3
	flat_load_b32 v11, v[1:2] offset:4
.LBB5_5:
	s_waitcnt vmcnt(0) lgkmcnt(0)
	v_cmp_eq_f32_e32 vcc_lo, 0, v8
	v_cmp_eq_f32_e64 s2, 0, v9
	s_delay_alu instid0(VALU_DEP_1)
	s_and_b32 s4, vcc_lo, s2
	s_mov_b32 s2, -1
	s_and_saveexec_b32 s3, s4
; %bb.6:
	v_cmp_neq_f32_e32 vcc_lo, 1.0, v10
	v_cmp_neq_f32_e64 s2, 0, v11
	s_delay_alu instid0(VALU_DEP_1) | instskip(NEXT) | instid1(SALU_CYCLE_1)
	s_or_b32 s2, vcc_lo, s2
	s_or_not1_b32 s2, s2, exec_lo
; %bb.7:
	s_or_b32 exec_lo, exec_lo, s3
	s_and_saveexec_b32 s3, s2
	s_cbranch_execz .LBB5_27
; %bb.8:
	s_load_b32 s2, s[0:1], 0x0
	v_mov_b32_e32 v2, 0
	v_and_b32_e32 v12, 63, v0
	s_mov_b32 s9, exec_lo
	s_delay_alu instid0(VALU_DEP_2) | instskip(NEXT) | instid1(VALU_DEP_2)
	v_mov_b32_e32 v3, v2
	v_lshl_or_b32 v1, s15, 6, v12
	s_waitcnt lgkmcnt(0)
	s_delay_alu instid0(VALU_DEP_1)
	v_cmp_le_i32_e32 vcc_lo, s2, v1
	v_cmpx_gt_i32_e64 s2, v1
	s_cbranch_execz .LBB5_14
; %bb.9:
	s_load_b32 s10, s[0:1], 0x20
	v_lshrrev_b32_e32 v13, 6, v0
	v_dual_mov_b32 v3, 0 :: v_dual_mov_b32 v2, 0
	s_mov_b32 s11, exec_lo
	s_waitcnt lgkmcnt(0)
	s_delay_alu instid0(VALU_DEP_2)
	v_cmpx_gt_i32_e64 s10, v13
	s_cbranch_execz .LBB5_13
; %bb.10:
	s_clause 0x1
	s_load_b128 s[4:7], s[0:1], 0x10
	s_load_b128 s[12:15], s[0:1], 0x28
	v_ashrrev_i32_e32 v2, 31, v1
	v_lshrrev_b32_e32 v6, 6, v0
	v_mov_b32_e32 v3, 0
	s_delay_alu instid0(VALU_DEP_3) | instskip(NEXT) | instid1(VALU_DEP_3)
	v_lshlrev_b64 v[4:5], 3, v[1:2]
	v_lshlrev_b32_e32 v2, 3, v6
	v_lshlrev_b32_e32 v6, 2, v6
	s_waitcnt lgkmcnt(0)
	s_delay_alu instid0(VALU_DEP_3) | instskip(NEXT) | instid1(VALU_DEP_1)
	v_add_co_u32 v14, s2, s4, v4
	v_add_co_ci_u32_e64 v15, s2, s5, v5, s2
	v_add_co_u32 v2, s2, v2, s12
	s_delay_alu instid0(VALU_DEP_1) | instskip(SKIP_1) | instid1(VALU_DEP_1)
	v_add_co_ci_u32_e64 v7, null, 0, s13, s2
	v_add_co_u32 v4, s2, s14, v6
	v_add_co_ci_u32_e64 v5, null, s15, 0, s2
	s_delay_alu instid0(VALU_DEP_4) | instskip(NEXT) | instid1(VALU_DEP_1)
	v_add_co_u32 v6, s2, v2, 4
	v_add_co_ci_u32_e64 v7, s2, 0, v7, s2
	v_mov_b32_e32 v2, v3
	s_mov_b32 s4, 0
	s_set_inst_prefetch_distance 0x1
	.p2align	6
.LBB5_11:                               ; =>This Inner Loop Header: Depth=1
	global_load_b32 v16, v[4:5], off
	s_waitcnt vmcnt(0)
	v_subrev_nc_u32_e32 v18, s8, v16
	s_delay_alu instid0(VALU_DEP_1) | instskip(SKIP_2) | instid1(VALU_DEP_3)
	v_ashrrev_i32_e32 v19, 31, v18
	v_mul_lo_u32 v20, v18, s7
	v_mad_u64_u32 v[16:17], null, v18, s6, 0
	v_mul_lo_u32 v18, v19, s6
	s_delay_alu instid0(VALU_DEP_1) | instskip(NEXT) | instid1(VALU_DEP_1)
	v_add3_u32 v17, v17, v20, v18
	v_lshlrev_b64 v[16:17], 3, v[16:17]
	s_delay_alu instid0(VALU_DEP_1) | instskip(NEXT) | instid1(VALU_DEP_1)
	v_add_co_u32 v16, s2, v14, v16
	v_add_co_ci_u32_e64 v17, s2, v15, v17, s2
	global_load_b64 v[18:19], v[6:7], off offset:-4
	global_load_b64 v[16:17], v[16:17], off
	v_add_nc_u32_e32 v13, 16, v13
	v_add_co_u32 v6, s2, 0x80, v6
	s_delay_alu instid0(VALU_DEP_1) | instskip(SKIP_1) | instid1(VALU_DEP_1)
	v_add_co_ci_u32_e64 v7, s2, 0, v7, s2
	v_add_co_u32 v4, s2, v4, 64
	v_add_co_ci_u32_e64 v5, s2, 0, v5, s2
	s_waitcnt vmcnt(0)
	v_fmac_f32_e32 v2, v18, v16
	v_fmac_f32_e32 v3, v19, v16
	v_cmp_le_i32_e64 s3, s10, v13
	s_delay_alu instid0(VALU_DEP_3) | instskip(NEXT) | instid1(VALU_DEP_3)
	v_fma_f32 v2, -v19, v17, v2
	v_fmac_f32_e32 v3, v18, v17
	s_delay_alu instid0(VALU_DEP_3) | instskip(NEXT) | instid1(SALU_CYCLE_1)
	s_or_b32 s4, s3, s4
	s_and_not1_b32 exec_lo, exec_lo, s4
	s_cbranch_execnz .LBB5_11
; %bb.12:
	s_set_inst_prefetch_distance 0x2
	s_or_b32 exec_lo, exec_lo, s4
.LBB5_13:
	s_delay_alu instid0(SALU_CYCLE_1)
	s_or_b32 exec_lo, exec_lo, s11
.LBB5_14:
	s_delay_alu instid0(SALU_CYCLE_1)
	s_or_b32 exec_lo, exec_lo, s9
	v_lshlrev_b32_e32 v4, 3, v0
	s_mov_b32 s3, exec_lo
	ds_store_b64 v4, v[2:3]
	s_waitcnt lgkmcnt(0)
	s_barrier
	buffer_gl0_inv
	v_cmpx_gt_u32_e32 0x200, v0
	s_cbranch_execz .LBB5_16
; %bb.15:
	ds_load_2addr_stride64_b64 v[13:16], v4 offset1:8
	s_waitcnt lgkmcnt(0)
	v_dual_add_f32 v2, v15, v13 :: v_dual_add_f32 v3, v16, v14
	ds_store_b64 v4, v[2:3]
.LBB5_16:
	s_or_b32 exec_lo, exec_lo, s3
	s_delay_alu instid0(SALU_CYCLE_1)
	s_mov_b32 s3, exec_lo
	s_waitcnt lgkmcnt(0)
	s_barrier
	buffer_gl0_inv
	v_cmpx_gt_u32_e32 0x100, v0
	s_cbranch_execz .LBB5_18
; %bb.17:
	ds_load_2addr_stride64_b64 v[13:16], v4 offset1:4
	s_waitcnt lgkmcnt(0)
	v_dual_add_f32 v2, v15, v13 :: v_dual_add_f32 v3, v16, v14
	ds_store_b64 v4, v[2:3]
.LBB5_18:
	s_or_b32 exec_lo, exec_lo, s3
	s_delay_alu instid0(SALU_CYCLE_1)
	s_mov_b32 s3, exec_lo
	s_waitcnt lgkmcnt(0)
	s_barrier
	buffer_gl0_inv
	v_cmpx_gt_u32_e32 0x80, v0
	s_cbranch_execz .LBB5_20
; %bb.19:
	ds_load_2addr_stride64_b64 v[13:16], v4 offset1:2
	s_waitcnt lgkmcnt(0)
	v_dual_add_f32 v2, v15, v13 :: v_dual_add_f32 v3, v16, v14
	ds_store_b64 v4, v[2:3]
.LBB5_20:
	s_or_b32 exec_lo, exec_lo, s3
	v_cmp_lt_u32_e64 s2, 63, v0
	s_mov_b32 s4, exec_lo
	s_waitcnt lgkmcnt(0)
	s_barrier
	buffer_gl0_inv
	v_cmpx_gt_u32_e32 64, v0
	s_cbranch_execz .LBB5_22
; %bb.21:
	ds_load_2addr_stride64_b64 v[13:16], v4 offset1:1
	s_waitcnt lgkmcnt(0)
	v_dual_add_f32 v2, v15, v13 :: v_dual_add_f32 v3, v16, v14
	ds_store_b64 v4, v[2:3]
.LBB5_22:
	s_or_b32 exec_lo, exec_lo, s4
	s_or_b32 s2, s2, vcc_lo
	s_delay_alu instid0(SALU_CYCLE_1) | instskip(NEXT) | instid1(SALU_CYCLE_1)
	s_xor_b32 s2, s2, -1
	s_and_b32 exec_lo, exec_lo, s2
	s_cbranch_execz .LBB5_27
; %bb.23:
	v_lshlrev_b32_e32 v0, 3, v12
	s_load_b64 s[0:1], s[0:1], 0x40
	v_ashrrev_i32_e32 v2, 31, v1
	s_mov_b32 s2, exec_lo
	ds_load_b64 v[3:4], v0
	v_or_b32_e32 v0, v10, v11
	s_delay_alu instid0(VALU_DEP_1) | instskip(NEXT) | instid1(VALU_DEP_1)
	v_and_b32_e32 v0, 0x7fffffff, v0
	v_cmpx_eq_u32_e32 0, v0
	s_xor_b32 s2, exec_lo, s2
	s_cbranch_execz .LBB5_25
; %bb.24:
	v_lshlrev_b64 v[0:1], 3, v[1:2]
	s_waitcnt lgkmcnt(0)
	v_mul_f32_e64 v5, v4, -v9
	v_mul_f32_e32 v6, v4, v8
                                        ; implicit-def: $vgpr11
                                        ; implicit-def: $vgpr10
	s_delay_alu instid0(VALU_DEP_2) | instskip(NEXT) | instid1(VALU_DEP_4)
	v_fmac_f32_e32 v5, v8, v3
	v_add_co_u32 v0, vcc_lo, s0, v0
	s_delay_alu instid0(VALU_DEP_3)
	v_fmac_f32_e32 v6, v9, v3
	v_add_co_ci_u32_e32 v1, vcc_lo, s1, v1, vcc_lo
                                        ; implicit-def: $vgpr8
                                        ; implicit-def: $vgpr3_vgpr4
                                        ; implicit-def: $vgpr9
	global_store_b64 v[0:1], v[5:6], off
                                        ; implicit-def: $vgpr1
.LBB5_25:
	s_and_not1_saveexec_b32 s2, s2
	s_cbranch_execz .LBB5_27
; %bb.26:
	v_lshlrev_b64 v[0:1], 3, v[1:2]
	s_waitcnt lgkmcnt(0)
	s_delay_alu instid0(VALU_DEP_1) | instskip(NEXT) | instid1(VALU_DEP_2)
	v_add_co_u32 v0, vcc_lo, s0, v0
	v_add_co_ci_u32_e32 v1, vcc_lo, s1, v1, vcc_lo
	global_load_b64 v[5:6], v[0:1], off
	s_waitcnt vmcnt(0)
	v_mul_f32_e64 v2, v6, -v11
	v_mul_f32_e32 v6, v6, v10
	s_delay_alu instid0(VALU_DEP_2) | instskip(NEXT) | instid1(VALU_DEP_2)
	v_fmac_f32_e32 v2, v10, v5
	v_fmac_f32_e32 v6, v11, v5
	s_delay_alu instid0(VALU_DEP_2) | instskip(NEXT) | instid1(VALU_DEP_2)
	v_fmac_f32_e32 v2, v8, v3
	v_fmac_f32_e32 v6, v9, v3
	s_delay_alu instid0(VALU_DEP_2) | instskip(NEXT) | instid1(VALU_DEP_2)
	v_fma_f32 v5, -v9, v4, v2
	v_fmac_f32_e32 v6, v8, v4
	global_store_b64 v[0:1], v[5:6], off
.LBB5_27:
	s_nop 0
	s_sendmsg sendmsg(MSG_DEALLOC_VGPRS)
	s_endpgm
.LBB5_28:
	v_dual_mov_b32 v1, s4 :: v_dual_mov_b32 v2, s5
	flat_load_b32 v8, v[1:2]
	v_cndmask_b32_e64 v1, 0, 1, s6
	v_mov_b32_e32 v9, s5
	s_and_not1_b32 vcc_lo, exec_lo, s6
	s_cbranch_vccnz .LBB5_2
.LBB5_29:
	v_dual_mov_b32 v2, s4 :: v_dual_mov_b32 v3, s5
	flat_load_b32 v9, v[2:3] offset:4
	v_cmp_ne_u32_e32 vcc_lo, 1, v1
	v_mov_b32_e32 v10, s2
	s_cbranch_vccnz .LBB5_3
.LBB5_30:
	v_dual_mov_b32 v2, s2 :: v_dual_mov_b32 v3, s3
	flat_load_b32 v10, v[2:3]
	v_cmp_ne_u32_e32 vcc_lo, 1, v1
	v_mov_b32_e32 v11, s3
	s_cbranch_vccz .LBB5_4
	s_branch .LBB5_5
	.section	.rodata,"a",@progbits
	.p2align	6, 0x0
	.amdhsa_kernel _ZN9rocsparseL12gemvi_kernelILj1024ELj64Ei21rocsparse_complex_numIfEEEvT1_S3_NS_24const_host_device_scalarIT2_EEPKS5_lS3_S8_PKS3_S6_PS5_21rocsparse_index_base_b
		.amdhsa_group_segment_fixed_size 8192
		.amdhsa_private_segment_fixed_size 0
		.amdhsa_kernarg_size 80
		.amdhsa_user_sgpr_count 15
		.amdhsa_user_sgpr_dispatch_ptr 0
		.amdhsa_user_sgpr_queue_ptr 0
		.amdhsa_user_sgpr_kernarg_segment_ptr 1
		.amdhsa_user_sgpr_dispatch_id 0
		.amdhsa_user_sgpr_private_segment_size 0
		.amdhsa_wavefront_size32 1
		.amdhsa_uses_dynamic_stack 0
		.amdhsa_enable_private_segment 0
		.amdhsa_system_sgpr_workgroup_id_x 1
		.amdhsa_system_sgpr_workgroup_id_y 0
		.amdhsa_system_sgpr_workgroup_id_z 0
		.amdhsa_system_sgpr_workgroup_info 0
		.amdhsa_system_vgpr_workitem_id 0
		.amdhsa_next_free_vgpr 21
		.amdhsa_next_free_sgpr 16
		.amdhsa_reserve_vcc 1
		.amdhsa_float_round_mode_32 0
		.amdhsa_float_round_mode_16_64 0
		.amdhsa_float_denorm_mode_32 3
		.amdhsa_float_denorm_mode_16_64 3
		.amdhsa_dx10_clamp 1
		.amdhsa_ieee_mode 1
		.amdhsa_fp16_overflow 0
		.amdhsa_workgroup_processor_mode 1
		.amdhsa_memory_ordered 1
		.amdhsa_forward_progress 0
		.amdhsa_shared_vgpr_count 0
		.amdhsa_exception_fp_ieee_invalid_op 0
		.amdhsa_exception_fp_denorm_src 0
		.amdhsa_exception_fp_ieee_div_zero 0
		.amdhsa_exception_fp_ieee_overflow 0
		.amdhsa_exception_fp_ieee_underflow 0
		.amdhsa_exception_fp_ieee_inexact 0
		.amdhsa_exception_int_div_zero 0
	.end_amdhsa_kernel
	.section	.text._ZN9rocsparseL12gemvi_kernelILj1024ELj64Ei21rocsparse_complex_numIfEEEvT1_S3_NS_24const_host_device_scalarIT2_EEPKS5_lS3_S8_PKS3_S6_PS5_21rocsparse_index_base_b,"axG",@progbits,_ZN9rocsparseL12gemvi_kernelILj1024ELj64Ei21rocsparse_complex_numIfEEEvT1_S3_NS_24const_host_device_scalarIT2_EEPKS5_lS3_S8_PKS3_S6_PS5_21rocsparse_index_base_b,comdat
.Lfunc_end5:
	.size	_ZN9rocsparseL12gemvi_kernelILj1024ELj64Ei21rocsparse_complex_numIfEEEvT1_S3_NS_24const_host_device_scalarIT2_EEPKS5_lS3_S8_PKS3_S6_PS5_21rocsparse_index_base_b, .Lfunc_end5-_ZN9rocsparseL12gemvi_kernelILj1024ELj64Ei21rocsparse_complex_numIfEEEvT1_S3_NS_24const_host_device_scalarIT2_EEPKS5_lS3_S8_PKS3_S6_PS5_21rocsparse_index_base_b
                                        ; -- End function
	.section	.AMDGPU.csdata,"",@progbits
; Kernel info:
; codeLenInByte = 1296
; NumSgprs: 18
; NumVgprs: 21
; ScratchSize: 0
; MemoryBound: 0
; FloatMode: 240
; IeeeMode: 1
; LDSByteSize: 8192 bytes/workgroup (compile time only)
; SGPRBlocks: 2
; VGPRBlocks: 2
; NumSGPRsForWavesPerEU: 18
; NumVGPRsForWavesPerEU: 21
; Occupancy: 16
; WaveLimiterHint : 1
; COMPUTE_PGM_RSRC2:SCRATCH_EN: 0
; COMPUTE_PGM_RSRC2:USER_SGPR: 15
; COMPUTE_PGM_RSRC2:TRAP_HANDLER: 0
; COMPUTE_PGM_RSRC2:TGID_X_EN: 1
; COMPUTE_PGM_RSRC2:TGID_Y_EN: 0
; COMPUTE_PGM_RSRC2:TGID_Z_EN: 0
; COMPUTE_PGM_RSRC2:TIDIG_COMP_CNT: 0
	.section	.text._ZN9rocsparseL12gemvi_kernelILj1024ELj32Ei21rocsparse_complex_numIdEEEvT1_S3_NS_24const_host_device_scalarIT2_EEPKS5_lS3_S8_PKS3_S6_PS5_21rocsparse_index_base_b,"axG",@progbits,_ZN9rocsparseL12gemvi_kernelILj1024ELj32Ei21rocsparse_complex_numIdEEEvT1_S3_NS_24const_host_device_scalarIT2_EEPKS5_lS3_S8_PKS3_S6_PS5_21rocsparse_index_base_b,comdat
	.globl	_ZN9rocsparseL12gemvi_kernelILj1024ELj32Ei21rocsparse_complex_numIdEEEvT1_S3_NS_24const_host_device_scalarIT2_EEPKS5_lS3_S8_PKS3_S6_PS5_21rocsparse_index_base_b ; -- Begin function _ZN9rocsparseL12gemvi_kernelILj1024ELj32Ei21rocsparse_complex_numIdEEEvT1_S3_NS_24const_host_device_scalarIT2_EEPKS5_lS3_S8_PKS3_S6_PS5_21rocsparse_index_base_b
	.p2align	8
	.type	_ZN9rocsparseL12gemvi_kernelILj1024ELj32Ei21rocsparse_complex_numIdEEEvT1_S3_NS_24const_host_device_scalarIT2_EEPKS5_lS3_S8_PKS3_S6_PS5_21rocsparse_index_base_b,@function
_ZN9rocsparseL12gemvi_kernelILj1024ELj32Ei21rocsparse_complex_numIdEEEvT1_S3_NS_24const_host_device_scalarIT2_EEPKS5_lS3_S8_PKS3_S6_PS5_21rocsparse_index_base_b: ; @_ZN9rocsparseL12gemvi_kernelILj1024ELj32Ei21rocsparse_complex_numIdEEEvT1_S3_NS_24const_host_device_scalarIT2_EEPKS5_lS3_S8_PKS3_S6_PS5_21rocsparse_index_base_b
; %bb.0:
	s_clause 0x1
	s_load_b64 s[12:13], s[2:3], 0x58
	s_load_b128 s[8:11], s[2:3], 0x8
	s_load_b64 s[16:17], s[0:1], 0x4
	s_mov_b64 s[0:1], src_shared_base
	v_and_b32_e32 v17, 0x3ff, v0
	s_load_b128 s[4:7], s[2:3], 0x40
	v_bfe_u32 v2, v0, 10, 10
	v_bfe_u32 v0, v0, 20, 10
	s_waitcnt lgkmcnt(0)
	s_bitcmp1_b32 s13, 0
	s_cselect_b32 s0, -1, 0
	s_delay_alu instid0(SALU_CYCLE_1) | instskip(SKIP_2) | instid1(SALU_CYCLE_1)
	s_and_b32 vcc_lo, s0, exec_lo
	s_cselect_b32 s13, s1, s9
	s_lshr_b32 s14, s16, 16
	s_mul_i32 s14, s14, s17
	s_delay_alu instid0(SALU_CYCLE_1) | instskip(NEXT) | instid1(VALU_DEP_1)
	v_mul_lo_u32 v1, s14, v17
	v_mad_u32_u24 v1, v2, s17, v1
	v_dual_mov_b32 v2, s4 :: v_dual_mov_b32 v3, s5
	s_delay_alu instid0(VALU_DEP_2) | instskip(SKIP_1) | instid1(VALU_DEP_2)
	v_add_lshl_u32 v6, v1, v0, 3
	v_dual_mov_b32 v0, s8 :: v_dual_mov_b32 v5, s13
	v_dual_mov_b32 v1, s9 :: v_dual_add_nc_u32 v4, 0x6000, v6
	ds_store_2addr_stride64_b64 v6, v[2:3], v[0:1] offset0:32 offset1:48
	v_add_nc_u32_e32 v0, 0x4000, v6
	v_cndmask_b32_e64 v4, s8, v4, s0
	v_dual_mov_b32 v6, s10 :: v_dual_mov_b32 v7, s11
	s_xor_b32 s10, s0, -1
	flat_load_b64 v[4:5], v[4:5]
	s_cbranch_vccnz .LBB6_2
; %bb.1:
	v_dual_mov_b32 v1, s8 :: v_dual_mov_b32 v2, s9
	flat_load_b64 v[6:7], v[1:2] offset:8
.LBB6_2:
	s_and_b32 s8, s0, exec_lo
	s_cselect_b32 s1, s1, s5
	v_cndmask_b32_e64 v0, s4, v0, s0
	v_mov_b32_e32 v1, s1
	v_dual_mov_b32 v11, s7 :: v_dual_mov_b32 v10, s6
	s_and_not1_b32 vcc_lo, exec_lo, s10
	flat_load_b64 v[8:9], v[0:1]
	s_cbranch_vccnz .LBB6_4
; %bb.3:
	v_dual_mov_b32 v0, s4 :: v_dual_mov_b32 v1, s5
	flat_load_b64 v[10:11], v[0:1] offset:8
.LBB6_4:
	s_waitcnt vmcnt(1) lgkmcnt(1)
	v_cmp_eq_f64_e32 vcc_lo, 0, v[4:5]
	v_cmp_eq_f64_e64 s0, 0, v[6:7]
	s_delay_alu instid0(VALU_DEP_1)
	s_and_b32 s4, vcc_lo, s0
	s_mov_b32 s0, -1
	s_and_saveexec_b32 s1, s4
	s_cbranch_execz .LBB6_6
; %bb.5:
	s_waitcnt vmcnt(0) lgkmcnt(0)
	v_cmp_neq_f64_e32 vcc_lo, 1.0, v[8:9]
	v_cmp_neq_f64_e64 s0, 0, v[10:11]
	s_delay_alu instid0(VALU_DEP_1) | instskip(NEXT) | instid1(SALU_CYCLE_1)
	s_or_b32 s0, vcc_lo, s0
	s_or_not1_b32 s0, s0, exec_lo
.LBB6_6:
	s_or_b32 exec_lo, exec_lo, s1
	s_and_saveexec_b32 s1, s0
	s_cbranch_execz .LBB6_28
; %bb.7:
	s_load_b32 s0, s[2:3], 0x0
	v_and_b32_e32 v18, 31, v17
	v_mov_b32_e32 v0, 0
	v_mov_b32_e32 v1, 0
	s_mov_b32 s8, exec_lo
	s_delay_alu instid0(VALU_DEP_3) | instskip(NEXT) | instid1(VALU_DEP_2)
	v_lshl_or_b32 v12, s15, 5, v18
	v_dual_mov_b32 v3, v1 :: v_dual_mov_b32 v2, v0
	s_waitcnt lgkmcnt(0)
	s_delay_alu instid0(VALU_DEP_2)
	v_cmp_le_i32_e32 vcc_lo, s0, v12
	v_cmpx_gt_i32_e64 s0, v12
	s_cbranch_execz .LBB6_13
; %bb.8:
	s_load_b32 s9, s[2:3], 0x28
	v_mov_b32_e32 v2, 0
	v_mov_b32_e32 v3, 0
	v_lshrrev_b32_e32 v19, 5, v17
	s_delay_alu instid0(VALU_DEP_3) | instskip(SKIP_1) | instid1(VALU_DEP_3)
	v_mov_b32_e32 v0, v2
	s_mov_b32 s10, exec_lo
	v_mov_b32_e32 v1, v3
	s_waitcnt lgkmcnt(0)
	v_cmpx_gt_i32_e64 s9, v19
	s_cbranch_execz .LBB6_12
; %bb.9:
	s_clause 0x1
	s_load_b128 s[4:7], s[2:3], 0x18
	s_load_b128 s[16:19], s[2:3], 0x30
	v_ashrrev_i32_e32 v13, 31, v12
	v_lshrrev_b32_e32 v14, 5, v17
	v_mov_b32_e32 v2, 0
	v_mov_b32_e32 v3, 0
	s_delay_alu instid0(VALU_DEP_4) | instskip(NEXT) | instid1(VALU_DEP_4)
	v_lshlrev_b64 v[0:1], 4, v[12:13]
	v_lshlrev_b32_e32 v13, 4, v14
	v_lshlrev_b32_e32 v14, 2, v14
	s_waitcnt lgkmcnt(0)
	s_delay_alu instid0(VALU_DEP_3) | instskip(NEXT) | instid1(VALU_DEP_1)
	v_add_co_u32 v20, s0, s4, v0
	v_add_co_ci_u32_e64 v21, s0, s5, v1, s0
	v_add_co_u32 v0, s0, v13, s16
	s_delay_alu instid0(VALU_DEP_1) | instskip(SKIP_1) | instid1(VALU_DEP_1)
	v_add_co_ci_u32_e64 v1, null, 0, s17, s0
	v_add_co_u32 v13, s0, s18, v14
	v_add_co_ci_u32_e64 v14, null, s19, 0, s0
	s_delay_alu instid0(VALU_DEP_4) | instskip(NEXT) | instid1(VALU_DEP_1)
	v_add_co_u32 v15, s0, v0, 8
	v_add_co_ci_u32_e64 v16, s0, 0, v1, s0
	v_dual_mov_b32 v0, v2 :: v_dual_mov_b32 v1, v3
	s_mov_b32 s4, 0
	s_set_inst_prefetch_distance 0x1
	.p2align	6
.LBB6_10:                               ; =>This Inner Loop Header: Depth=1
	global_load_b32 v22, v[13:14], off
	v_add_nc_u32_e32 v19, 32, v19
	v_add_co_u32 v13, s1, 0x80, v13
	s_delay_alu instid0(VALU_DEP_1) | instskip(SKIP_2) | instid1(VALU_DEP_1)
	v_add_co_ci_u32_e64 v14, s1, 0, v14, s1
	s_waitcnt vmcnt(0)
	v_subrev_nc_u32_e32 v24, s12, v22
	v_ashrrev_i32_e32 v25, 31, v24
	v_mul_lo_u32 v26, v24, s7
	v_mad_u64_u32 v[22:23], null, v24, s6, 0
	s_delay_alu instid0(VALU_DEP_3) | instskip(NEXT) | instid1(VALU_DEP_1)
	v_mul_lo_u32 v24, v25, s6
	v_add3_u32 v23, v23, v26, v24
	s_delay_alu instid0(VALU_DEP_1) | instskip(NEXT) | instid1(VALU_DEP_1)
	v_lshlrev_b64 v[22:23], 4, v[22:23]
	v_add_co_u32 v26, s0, v20, v22
	s_delay_alu instid0(VALU_DEP_1) | instskip(SKIP_3) | instid1(VALU_DEP_1)
	v_add_co_ci_u32_e64 v27, s0, v21, v23, s0
	global_load_b128 v[22:25], v[15:16], off offset:-8
	global_load_b128 v[26:29], v[26:27], off
	v_add_co_u32 v15, s0, 0x200, v15
	v_add_co_ci_u32_e64 v16, s0, 0, v16, s0
	v_cmp_le_i32_e64 s0, s9, v19
	s_delay_alu instid0(VALU_DEP_1) | instskip(SKIP_3) | instid1(VALU_DEP_2)
	s_or_b32 s4, s0, s4
	s_waitcnt vmcnt(0)
	v_fma_f64 v[0:1], v[22:23], v[26:27], v[0:1]
	v_fma_f64 v[2:3], v[24:25], v[26:27], v[2:3]
	v_fma_f64 v[0:1], -v[24:25], v[28:29], v[0:1]
	s_delay_alu instid0(VALU_DEP_2)
	v_fma_f64 v[2:3], v[22:23], v[28:29], v[2:3]
	s_and_not1_b32 exec_lo, exec_lo, s4
	s_cbranch_execnz .LBB6_10
; %bb.11:
	s_set_inst_prefetch_distance 0x2
	s_or_b32 exec_lo, exec_lo, s4
.LBB6_12:
	s_delay_alu instid0(SALU_CYCLE_1)
	s_or_b32 exec_lo, exec_lo, s10
.LBB6_13:
	s_delay_alu instid0(SALU_CYCLE_1)
	s_or_b32 exec_lo, exec_lo, s8
	v_lshlrev_b32_e32 v13, 4, v17
	s_mov_b32 s1, exec_lo
	ds_store_b128 v13, v[0:3]
	s_waitcnt vmcnt(0) lgkmcnt(0)
	s_barrier
	buffer_gl0_inv
	v_cmpx_gt_u32_e32 0x200, v17
	s_cbranch_execz .LBB6_15
; %bb.14:
	ds_load_b128 v[0:3], v13 offset:8192
	ds_load_b128 v[19:22], v13
	s_waitcnt lgkmcnt(0)
	v_add_f64 v[0:1], v[0:1], v[19:20]
	v_add_f64 v[2:3], v[2:3], v[21:22]
	ds_store_b128 v13, v[0:3]
.LBB6_15:
	s_or_b32 exec_lo, exec_lo, s1
	s_delay_alu instid0(SALU_CYCLE_1)
	s_mov_b32 s1, exec_lo
	s_waitcnt lgkmcnt(0)
	s_barrier
	buffer_gl0_inv
	v_cmpx_gt_u32_e32 0x100, v17
	s_cbranch_execz .LBB6_17
; %bb.16:
	ds_load_b128 v[0:3], v13 offset:4096
	ds_load_b128 v[19:22], v13
	s_waitcnt lgkmcnt(0)
	v_add_f64 v[0:1], v[0:1], v[19:20]
	v_add_f64 v[2:3], v[2:3], v[21:22]
	ds_store_b128 v13, v[0:3]
.LBB6_17:
	s_or_b32 exec_lo, exec_lo, s1
	s_delay_alu instid0(SALU_CYCLE_1)
	s_mov_b32 s1, exec_lo
	s_waitcnt lgkmcnt(0)
	;; [unrolled: 16-line block ×3, first 2 shown]
	s_barrier
	buffer_gl0_inv
	v_cmpx_gt_u32_e32 64, v17
	s_cbranch_execz .LBB6_21
; %bb.20:
	ds_load_b128 v[0:3], v13 offset:1024
	ds_load_b128 v[19:22], v13
	s_waitcnt lgkmcnt(0)
	v_add_f64 v[0:1], v[0:1], v[19:20]
	v_add_f64 v[2:3], v[2:3], v[21:22]
	ds_store_b128 v13, v[0:3]
.LBB6_21:
	s_or_b32 exec_lo, exec_lo, s1
	v_cmp_lt_u32_e64 s0, 31, v17
	s_mov_b32 s4, exec_lo
	s_waitcnt lgkmcnt(0)
	s_barrier
	buffer_gl0_inv
	v_cmpx_gt_u32_e32 32, v17
	s_cbranch_execz .LBB6_23
; %bb.22:
	ds_load_b128 v[0:3], v13 offset:512
	ds_load_b128 v[14:17], v13
	s_waitcnt lgkmcnt(0)
	v_add_f64 v[0:1], v[0:1], v[14:15]
	v_add_f64 v[2:3], v[2:3], v[16:17]
	ds_store_b128 v13, v[0:3]
.LBB6_23:
	s_or_b32 exec_lo, exec_lo, s4
	s_or_b32 s0, s0, vcc_lo
	s_delay_alu instid0(SALU_CYCLE_1) | instskip(NEXT) | instid1(SALU_CYCLE_1)
	s_xor_b32 s0, s0, -1
	s_and_b32 exec_lo, exec_lo, s0
	s_cbranch_execz .LBB6_28
; %bb.24:
	v_cmp_eq_f64_e32 vcc_lo, 0, v[8:9]
	v_cmp_eq_f64_e64 s0, 0, v[10:11]
	v_lshlrev_b32_e32 v0, 4, v18
	s_load_b64 s[2:3], s[2:3], 0x50
	v_ashrrev_i32_e32 v13, 31, v12
	ds_load_b128 v[0:3], v0
	s_and_b32 s0, vcc_lo, s0
	s_delay_alu instid0(SALU_CYCLE_1) | instskip(NEXT) | instid1(SALU_CYCLE_1)
	s_and_saveexec_b32 s1, s0
	s_xor_b32 s0, exec_lo, s1
	s_cbranch_execz .LBB6_26
; %bb.25:
	s_waitcnt lgkmcnt(0)
	v_mul_f64 v[8:9], v[2:3], -v[6:7]
	v_mul_f64 v[10:11], v[4:5], v[2:3]
	s_delay_alu instid0(VALU_DEP_2) | instskip(NEXT) | instid1(VALU_DEP_2)
	v_fma_f64 v[2:3], v[4:5], v[0:1], v[8:9]
	v_fma_f64 v[4:5], v[6:7], v[0:1], v[10:11]
	v_lshlrev_b64 v[0:1], 4, v[12:13]
                                        ; implicit-def: $vgpr12
                                        ; implicit-def: $vgpr10_vgpr11
                                        ; implicit-def: $vgpr8_vgpr9
                                        ; implicit-def: $vgpr6_vgpr7
	s_delay_alu instid0(VALU_DEP_1) | instskip(NEXT) | instid1(VALU_DEP_2)
	v_add_co_u32 v0, vcc_lo, s2, v0
	v_add_co_ci_u32_e32 v1, vcc_lo, s3, v1, vcc_lo
	global_store_b128 v[0:1], v[2:5], off
                                        ; implicit-def: $vgpr4_vgpr5
                                        ; implicit-def: $vgpr0_vgpr1
.LBB6_26:
	s_and_not1_saveexec_b32 s0, s0
	s_cbranch_execz .LBB6_28
; %bb.27:
	v_lshlrev_b64 v[12:13], 4, v[12:13]
	s_waitcnt lgkmcnt(0)
	s_delay_alu instid0(VALU_DEP_1) | instskip(NEXT) | instid1(VALU_DEP_2)
	v_add_co_u32 v16, vcc_lo, s2, v12
	v_add_co_ci_u32_e32 v17, vcc_lo, s3, v13, vcc_lo
	global_load_b128 v[12:15], v[16:17], off
	s_waitcnt vmcnt(0)
	v_mul_f64 v[18:19], v[14:15], -v[10:11]
	v_mul_f64 v[14:15], v[8:9], v[14:15]
	s_delay_alu instid0(VALU_DEP_2) | instskip(NEXT) | instid1(VALU_DEP_2)
	v_fma_f64 v[8:9], v[8:9], v[12:13], v[18:19]
	v_fma_f64 v[10:11], v[10:11], v[12:13], v[14:15]
	s_delay_alu instid0(VALU_DEP_2) | instskip(NEXT) | instid1(VALU_DEP_2)
	v_fma_f64 v[8:9], v[4:5], v[0:1], v[8:9]
	v_fma_f64 v[10:11], v[6:7], v[0:1], v[10:11]
	s_delay_alu instid0(VALU_DEP_2) | instskip(NEXT) | instid1(VALU_DEP_2)
	v_fma_f64 v[0:1], -v[6:7], v[2:3], v[8:9]
	v_fma_f64 v[2:3], v[4:5], v[2:3], v[10:11]
	global_store_b128 v[16:17], v[0:3], off
.LBB6_28:
	s_nop 0
	s_sendmsg sendmsg(MSG_DEALLOC_VGPRS)
	s_endpgm
	.section	.rodata,"a",@progbits
	.p2align	6, 0x0
	.amdhsa_kernel _ZN9rocsparseL12gemvi_kernelILj1024ELj32Ei21rocsparse_complex_numIdEEEvT1_S3_NS_24const_host_device_scalarIT2_EEPKS5_lS3_S8_PKS3_S6_PS5_21rocsparse_index_base_b
		.amdhsa_group_segment_fixed_size 32768
		.amdhsa_private_segment_fixed_size 0
		.amdhsa_kernarg_size 96
		.amdhsa_user_sgpr_count 15
		.amdhsa_user_sgpr_dispatch_ptr 1
		.amdhsa_user_sgpr_queue_ptr 0
		.amdhsa_user_sgpr_kernarg_segment_ptr 1
		.amdhsa_user_sgpr_dispatch_id 0
		.amdhsa_user_sgpr_private_segment_size 0
		.amdhsa_wavefront_size32 1
		.amdhsa_uses_dynamic_stack 0
		.amdhsa_enable_private_segment 0
		.amdhsa_system_sgpr_workgroup_id_x 1
		.amdhsa_system_sgpr_workgroup_id_y 0
		.amdhsa_system_sgpr_workgroup_id_z 0
		.amdhsa_system_sgpr_workgroup_info 0
		.amdhsa_system_vgpr_workitem_id 2
		.amdhsa_next_free_vgpr 30
		.amdhsa_next_free_sgpr 20
		.amdhsa_reserve_vcc 1
		.amdhsa_float_round_mode_32 0
		.amdhsa_float_round_mode_16_64 0
		.amdhsa_float_denorm_mode_32 3
		.amdhsa_float_denorm_mode_16_64 3
		.amdhsa_dx10_clamp 1
		.amdhsa_ieee_mode 1
		.amdhsa_fp16_overflow 0
		.amdhsa_workgroup_processor_mode 1
		.amdhsa_memory_ordered 1
		.amdhsa_forward_progress 0
		.amdhsa_shared_vgpr_count 0
		.amdhsa_exception_fp_ieee_invalid_op 0
		.amdhsa_exception_fp_denorm_src 0
		.amdhsa_exception_fp_ieee_div_zero 0
		.amdhsa_exception_fp_ieee_overflow 0
		.amdhsa_exception_fp_ieee_underflow 0
		.amdhsa_exception_fp_ieee_inexact 0
		.amdhsa_exception_int_div_zero 0
	.end_amdhsa_kernel
	.section	.text._ZN9rocsparseL12gemvi_kernelILj1024ELj32Ei21rocsparse_complex_numIdEEEvT1_S3_NS_24const_host_device_scalarIT2_EEPKS5_lS3_S8_PKS3_S6_PS5_21rocsparse_index_base_b,"axG",@progbits,_ZN9rocsparseL12gemvi_kernelILj1024ELj32Ei21rocsparse_complex_numIdEEEvT1_S3_NS_24const_host_device_scalarIT2_EEPKS5_lS3_S8_PKS3_S6_PS5_21rocsparse_index_base_b,comdat
.Lfunc_end6:
	.size	_ZN9rocsparseL12gemvi_kernelILj1024ELj32Ei21rocsparse_complex_numIdEEEvT1_S3_NS_24const_host_device_scalarIT2_EEPKS5_lS3_S8_PKS3_S6_PS5_21rocsparse_index_base_b, .Lfunc_end6-_ZN9rocsparseL12gemvi_kernelILj1024ELj32Ei21rocsparse_complex_numIdEEEvT1_S3_NS_24const_host_device_scalarIT2_EEPKS5_lS3_S8_PKS3_S6_PS5_21rocsparse_index_base_b
                                        ; -- End function
	.section	.AMDGPU.csdata,"",@progbits
; Kernel info:
; codeLenInByte = 1584
; NumSgprs: 22
; NumVgprs: 30
; ScratchSize: 0
; MemoryBound: 0
; FloatMode: 240
; IeeeMode: 1
; LDSByteSize: 32768 bytes/workgroup (compile time only)
; SGPRBlocks: 2
; VGPRBlocks: 3
; NumSGPRsForWavesPerEU: 22
; NumVGPRsForWavesPerEU: 30
; Occupancy: 16
; WaveLimiterHint : 1
; COMPUTE_PGM_RSRC2:SCRATCH_EN: 0
; COMPUTE_PGM_RSRC2:USER_SGPR: 15
; COMPUTE_PGM_RSRC2:TRAP_HANDLER: 0
; COMPUTE_PGM_RSRC2:TGID_X_EN: 1
; COMPUTE_PGM_RSRC2:TGID_Y_EN: 0
; COMPUTE_PGM_RSRC2:TGID_Z_EN: 0
; COMPUTE_PGM_RSRC2:TIDIG_COMP_CNT: 2
	.section	.text._ZN9rocsparseL12gemvi_kernelILj1024ELj64Ei21rocsparse_complex_numIdEEEvT1_S3_NS_24const_host_device_scalarIT2_EEPKS5_lS3_S8_PKS3_S6_PS5_21rocsparse_index_base_b,"axG",@progbits,_ZN9rocsparseL12gemvi_kernelILj1024ELj64Ei21rocsparse_complex_numIdEEEvT1_S3_NS_24const_host_device_scalarIT2_EEPKS5_lS3_S8_PKS3_S6_PS5_21rocsparse_index_base_b,comdat
	.globl	_ZN9rocsparseL12gemvi_kernelILj1024ELj64Ei21rocsparse_complex_numIdEEEvT1_S3_NS_24const_host_device_scalarIT2_EEPKS5_lS3_S8_PKS3_S6_PS5_21rocsparse_index_base_b ; -- Begin function _ZN9rocsparseL12gemvi_kernelILj1024ELj64Ei21rocsparse_complex_numIdEEEvT1_S3_NS_24const_host_device_scalarIT2_EEPKS5_lS3_S8_PKS3_S6_PS5_21rocsparse_index_base_b
	.p2align	8
	.type	_ZN9rocsparseL12gemvi_kernelILj1024ELj64Ei21rocsparse_complex_numIdEEEvT1_S3_NS_24const_host_device_scalarIT2_EEPKS5_lS3_S8_PKS3_S6_PS5_21rocsparse_index_base_b,@function
_ZN9rocsparseL12gemvi_kernelILj1024ELj64Ei21rocsparse_complex_numIdEEEvT1_S3_NS_24const_host_device_scalarIT2_EEPKS5_lS3_S8_PKS3_S6_PS5_21rocsparse_index_base_b: ; @_ZN9rocsparseL12gemvi_kernelILj1024ELj64Ei21rocsparse_complex_numIdEEEvT1_S3_NS_24const_host_device_scalarIT2_EEPKS5_lS3_S8_PKS3_S6_PS5_21rocsparse_index_base_b
; %bb.0:
	s_clause 0x1
	s_load_b64 s[12:13], s[2:3], 0x58
	s_load_b128 s[8:11], s[2:3], 0x8
	s_load_b64 s[16:17], s[0:1], 0x4
	s_mov_b64 s[0:1], src_shared_base
	v_and_b32_e32 v17, 0x3ff, v0
	s_load_b128 s[4:7], s[2:3], 0x40
	v_bfe_u32 v2, v0, 10, 10
	v_bfe_u32 v0, v0, 20, 10
	s_waitcnt lgkmcnt(0)
	s_bitcmp1_b32 s13, 0
	s_cselect_b32 s0, -1, 0
	s_delay_alu instid0(SALU_CYCLE_1) | instskip(SKIP_2) | instid1(SALU_CYCLE_1)
	s_and_b32 vcc_lo, s0, exec_lo
	s_cselect_b32 s13, s1, s9
	s_lshr_b32 s14, s16, 16
	s_mul_i32 s14, s14, s17
	s_delay_alu instid0(SALU_CYCLE_1) | instskip(NEXT) | instid1(VALU_DEP_1)
	v_mul_lo_u32 v1, s14, v17
	v_mad_u32_u24 v1, v2, s17, v1
	v_dual_mov_b32 v2, s4 :: v_dual_mov_b32 v3, s5
	s_delay_alu instid0(VALU_DEP_2) | instskip(SKIP_1) | instid1(VALU_DEP_2)
	v_add_lshl_u32 v6, v1, v0, 3
	v_dual_mov_b32 v0, s8 :: v_dual_mov_b32 v5, s13
	v_dual_mov_b32 v1, s9 :: v_dual_add_nc_u32 v4, 0x6000, v6
	ds_store_2addr_stride64_b64 v6, v[2:3], v[0:1] offset0:32 offset1:48
	v_add_nc_u32_e32 v0, 0x4000, v6
	v_cndmask_b32_e64 v4, s8, v4, s0
	v_dual_mov_b32 v6, s10 :: v_dual_mov_b32 v7, s11
	s_xor_b32 s10, s0, -1
	flat_load_b64 v[4:5], v[4:5]
	s_cbranch_vccnz .LBB7_2
; %bb.1:
	v_dual_mov_b32 v1, s8 :: v_dual_mov_b32 v2, s9
	flat_load_b64 v[6:7], v[1:2] offset:8
.LBB7_2:
	s_and_b32 s8, s0, exec_lo
	s_cselect_b32 s1, s1, s5
	v_cndmask_b32_e64 v0, s4, v0, s0
	v_mov_b32_e32 v1, s1
	v_dual_mov_b32 v11, s7 :: v_dual_mov_b32 v10, s6
	s_and_not1_b32 vcc_lo, exec_lo, s10
	flat_load_b64 v[8:9], v[0:1]
	s_cbranch_vccnz .LBB7_4
; %bb.3:
	v_dual_mov_b32 v0, s4 :: v_dual_mov_b32 v1, s5
	flat_load_b64 v[10:11], v[0:1] offset:8
.LBB7_4:
	s_waitcnt vmcnt(1) lgkmcnt(1)
	v_cmp_eq_f64_e32 vcc_lo, 0, v[4:5]
	v_cmp_eq_f64_e64 s0, 0, v[6:7]
	s_delay_alu instid0(VALU_DEP_1)
	s_and_b32 s4, vcc_lo, s0
	s_mov_b32 s0, -1
	s_and_saveexec_b32 s1, s4
	s_cbranch_execz .LBB7_6
; %bb.5:
	s_waitcnt vmcnt(0) lgkmcnt(0)
	v_cmp_neq_f64_e32 vcc_lo, 1.0, v[8:9]
	v_cmp_neq_f64_e64 s0, 0, v[10:11]
	s_delay_alu instid0(VALU_DEP_1) | instskip(NEXT) | instid1(SALU_CYCLE_1)
	s_or_b32 s0, vcc_lo, s0
	s_or_not1_b32 s0, s0, exec_lo
.LBB7_6:
	s_or_b32 exec_lo, exec_lo, s1
	s_and_saveexec_b32 s1, s0
	s_cbranch_execz .LBB7_26
; %bb.7:
	s_load_b32 s0, s[2:3], 0x0
	v_and_b32_e32 v18, 63, v17
	v_mov_b32_e32 v0, 0
	v_mov_b32_e32 v1, 0
	s_mov_b32 s8, exec_lo
	s_delay_alu instid0(VALU_DEP_3) | instskip(NEXT) | instid1(VALU_DEP_2)
	v_lshl_or_b32 v12, s15, 6, v18
	v_dual_mov_b32 v3, v1 :: v_dual_mov_b32 v2, v0
	s_waitcnt lgkmcnt(0)
	s_delay_alu instid0(VALU_DEP_2)
	v_cmp_le_i32_e32 vcc_lo, s0, v12
	v_cmpx_gt_i32_e64 s0, v12
	s_cbranch_execz .LBB7_13
; %bb.8:
	s_load_b32 s9, s[2:3], 0x28
	v_mov_b32_e32 v2, 0
	v_mov_b32_e32 v3, 0
	v_lshrrev_b32_e32 v19, 6, v17
	s_delay_alu instid0(VALU_DEP_3) | instskip(SKIP_1) | instid1(VALU_DEP_3)
	v_mov_b32_e32 v0, v2
	s_mov_b32 s10, exec_lo
	v_mov_b32_e32 v1, v3
	s_waitcnt lgkmcnt(0)
	v_cmpx_gt_i32_e64 s9, v19
	s_cbranch_execz .LBB7_12
; %bb.9:
	s_clause 0x1
	s_load_b128 s[4:7], s[2:3], 0x18
	s_load_b128 s[16:19], s[2:3], 0x30
	v_ashrrev_i32_e32 v13, 31, v12
	v_lshrrev_b32_e32 v14, 6, v17
	v_mov_b32_e32 v2, 0
	v_mov_b32_e32 v3, 0
	s_delay_alu instid0(VALU_DEP_4) | instskip(NEXT) | instid1(VALU_DEP_4)
	v_lshlrev_b64 v[0:1], 4, v[12:13]
	v_lshlrev_b32_e32 v13, 4, v14
	v_lshlrev_b32_e32 v14, 2, v14
	s_waitcnt lgkmcnt(0)
	s_delay_alu instid0(VALU_DEP_3) | instskip(NEXT) | instid1(VALU_DEP_1)
	v_add_co_u32 v20, s0, s4, v0
	v_add_co_ci_u32_e64 v21, s0, s5, v1, s0
	v_add_co_u32 v0, s0, v13, s16
	s_delay_alu instid0(VALU_DEP_1) | instskip(SKIP_1) | instid1(VALU_DEP_1)
	v_add_co_ci_u32_e64 v1, null, 0, s17, s0
	v_add_co_u32 v13, s0, s18, v14
	v_add_co_ci_u32_e64 v14, null, s19, 0, s0
	s_delay_alu instid0(VALU_DEP_4) | instskip(NEXT) | instid1(VALU_DEP_1)
	v_add_co_u32 v15, s0, v0, 8
	v_add_co_ci_u32_e64 v16, s0, 0, v1, s0
	v_dual_mov_b32 v0, v2 :: v_dual_mov_b32 v1, v3
	s_mov_b32 s4, 0
	s_set_inst_prefetch_distance 0x1
	.p2align	6
.LBB7_10:                               ; =>This Inner Loop Header: Depth=1
	global_load_b32 v22, v[13:14], off
	v_add_nc_u32_e32 v19, 16, v19
	v_add_co_u32 v13, s1, v13, 64
	s_delay_alu instid0(VALU_DEP_1) | instskip(SKIP_2) | instid1(VALU_DEP_1)
	v_add_co_ci_u32_e64 v14, s1, 0, v14, s1
	s_waitcnt vmcnt(0)
	v_subrev_nc_u32_e32 v24, s12, v22
	v_ashrrev_i32_e32 v25, 31, v24
	v_mul_lo_u32 v26, v24, s7
	v_mad_u64_u32 v[22:23], null, v24, s6, 0
	s_delay_alu instid0(VALU_DEP_3) | instskip(NEXT) | instid1(VALU_DEP_1)
	v_mul_lo_u32 v24, v25, s6
	v_add3_u32 v23, v23, v26, v24
	s_delay_alu instid0(VALU_DEP_1) | instskip(NEXT) | instid1(VALU_DEP_1)
	v_lshlrev_b64 v[22:23], 4, v[22:23]
	v_add_co_u32 v26, s0, v20, v22
	s_delay_alu instid0(VALU_DEP_1) | instskip(SKIP_3) | instid1(VALU_DEP_1)
	v_add_co_ci_u32_e64 v27, s0, v21, v23, s0
	global_load_b128 v[22:25], v[15:16], off offset:-8
	global_load_b128 v[26:29], v[26:27], off
	v_add_co_u32 v15, s0, 0x100, v15
	v_add_co_ci_u32_e64 v16, s0, 0, v16, s0
	v_cmp_le_i32_e64 s0, s9, v19
	s_delay_alu instid0(VALU_DEP_1) | instskip(SKIP_3) | instid1(VALU_DEP_2)
	s_or_b32 s4, s0, s4
	s_waitcnt vmcnt(0)
	v_fma_f64 v[0:1], v[22:23], v[26:27], v[0:1]
	v_fma_f64 v[2:3], v[24:25], v[26:27], v[2:3]
	v_fma_f64 v[0:1], -v[24:25], v[28:29], v[0:1]
	s_delay_alu instid0(VALU_DEP_2)
	v_fma_f64 v[2:3], v[22:23], v[28:29], v[2:3]
	s_and_not1_b32 exec_lo, exec_lo, s4
	s_cbranch_execnz .LBB7_10
; %bb.11:
	s_set_inst_prefetch_distance 0x2
	s_or_b32 exec_lo, exec_lo, s4
.LBB7_12:
	s_delay_alu instid0(SALU_CYCLE_1)
	s_or_b32 exec_lo, exec_lo, s10
.LBB7_13:
	s_delay_alu instid0(SALU_CYCLE_1)
	s_or_b32 exec_lo, exec_lo, s8
	v_lshlrev_b32_e32 v13, 4, v17
	s_mov_b32 s1, exec_lo
	ds_store_b128 v13, v[0:3]
	s_waitcnt vmcnt(0) lgkmcnt(0)
	s_barrier
	buffer_gl0_inv
	v_cmpx_gt_u32_e32 0x200, v17
	s_cbranch_execz .LBB7_15
; %bb.14:
	ds_load_b128 v[0:3], v13 offset:8192
	ds_load_b128 v[19:22], v13
	s_waitcnt lgkmcnt(0)
	v_add_f64 v[0:1], v[0:1], v[19:20]
	v_add_f64 v[2:3], v[2:3], v[21:22]
	ds_store_b128 v13, v[0:3]
.LBB7_15:
	s_or_b32 exec_lo, exec_lo, s1
	s_delay_alu instid0(SALU_CYCLE_1)
	s_mov_b32 s1, exec_lo
	s_waitcnt lgkmcnt(0)
	s_barrier
	buffer_gl0_inv
	v_cmpx_gt_u32_e32 0x100, v17
	s_cbranch_execz .LBB7_17
; %bb.16:
	ds_load_b128 v[0:3], v13 offset:4096
	ds_load_b128 v[19:22], v13
	s_waitcnt lgkmcnt(0)
	v_add_f64 v[0:1], v[0:1], v[19:20]
	v_add_f64 v[2:3], v[2:3], v[21:22]
	ds_store_b128 v13, v[0:3]
.LBB7_17:
	s_or_b32 exec_lo, exec_lo, s1
	s_delay_alu instid0(SALU_CYCLE_1)
	s_mov_b32 s1, exec_lo
	s_waitcnt lgkmcnt(0)
	s_barrier
	buffer_gl0_inv
	v_cmpx_gt_u32_e32 0x80, v17
	s_cbranch_execz .LBB7_19
; %bb.18:
	ds_load_b128 v[0:3], v13 offset:2048
	ds_load_b128 v[19:22], v13
	s_waitcnt lgkmcnt(0)
	v_add_f64 v[0:1], v[0:1], v[19:20]
	v_add_f64 v[2:3], v[2:3], v[21:22]
	ds_store_b128 v13, v[0:3]
.LBB7_19:
	s_or_b32 exec_lo, exec_lo, s1
	v_cmp_lt_u32_e64 s0, 63, v17
	s_mov_b32 s4, exec_lo
	s_waitcnt lgkmcnt(0)
	s_barrier
	buffer_gl0_inv
	v_cmpx_gt_u32_e32 64, v17
	s_cbranch_execz .LBB7_21
; %bb.20:
	ds_load_b128 v[0:3], v13 offset:1024
	ds_load_b128 v[14:17], v13
	s_waitcnt lgkmcnt(0)
	v_add_f64 v[0:1], v[0:1], v[14:15]
	v_add_f64 v[2:3], v[2:3], v[16:17]
	ds_store_b128 v13, v[0:3]
.LBB7_21:
	s_or_b32 exec_lo, exec_lo, s4
	s_or_b32 s0, s0, vcc_lo
	s_delay_alu instid0(SALU_CYCLE_1) | instskip(NEXT) | instid1(SALU_CYCLE_1)
	s_xor_b32 s0, s0, -1
	s_and_b32 exec_lo, exec_lo, s0
	s_cbranch_execz .LBB7_26
; %bb.22:
	v_cmp_eq_f64_e32 vcc_lo, 0, v[8:9]
	v_cmp_eq_f64_e64 s0, 0, v[10:11]
	v_lshlrev_b32_e32 v0, 4, v18
	s_load_b64 s[2:3], s[2:3], 0x50
	v_ashrrev_i32_e32 v13, 31, v12
	ds_load_b128 v[0:3], v0
	s_and_b32 s0, vcc_lo, s0
	s_delay_alu instid0(SALU_CYCLE_1) | instskip(NEXT) | instid1(SALU_CYCLE_1)
	s_and_saveexec_b32 s1, s0
	s_xor_b32 s0, exec_lo, s1
	s_cbranch_execz .LBB7_24
; %bb.23:
	s_waitcnt lgkmcnt(0)
	v_mul_f64 v[8:9], v[2:3], -v[6:7]
	v_mul_f64 v[10:11], v[4:5], v[2:3]
	s_delay_alu instid0(VALU_DEP_2) | instskip(NEXT) | instid1(VALU_DEP_2)
	v_fma_f64 v[2:3], v[4:5], v[0:1], v[8:9]
	v_fma_f64 v[4:5], v[6:7], v[0:1], v[10:11]
	v_lshlrev_b64 v[0:1], 4, v[12:13]
                                        ; implicit-def: $vgpr12
                                        ; implicit-def: $vgpr10_vgpr11
                                        ; implicit-def: $vgpr8_vgpr9
                                        ; implicit-def: $vgpr6_vgpr7
	s_delay_alu instid0(VALU_DEP_1) | instskip(NEXT) | instid1(VALU_DEP_2)
	v_add_co_u32 v0, vcc_lo, s2, v0
	v_add_co_ci_u32_e32 v1, vcc_lo, s3, v1, vcc_lo
	global_store_b128 v[0:1], v[2:5], off
                                        ; implicit-def: $vgpr4_vgpr5
                                        ; implicit-def: $vgpr0_vgpr1
.LBB7_24:
	s_and_not1_saveexec_b32 s0, s0
	s_cbranch_execz .LBB7_26
; %bb.25:
	v_lshlrev_b64 v[12:13], 4, v[12:13]
	s_waitcnt lgkmcnt(0)
	s_delay_alu instid0(VALU_DEP_1) | instskip(NEXT) | instid1(VALU_DEP_2)
	v_add_co_u32 v16, vcc_lo, s2, v12
	v_add_co_ci_u32_e32 v17, vcc_lo, s3, v13, vcc_lo
	global_load_b128 v[12:15], v[16:17], off
	s_waitcnt vmcnt(0)
	v_mul_f64 v[18:19], v[14:15], -v[10:11]
	v_mul_f64 v[14:15], v[8:9], v[14:15]
	s_delay_alu instid0(VALU_DEP_2) | instskip(NEXT) | instid1(VALU_DEP_2)
	v_fma_f64 v[8:9], v[8:9], v[12:13], v[18:19]
	v_fma_f64 v[10:11], v[10:11], v[12:13], v[14:15]
	s_delay_alu instid0(VALU_DEP_2) | instskip(NEXT) | instid1(VALU_DEP_2)
	v_fma_f64 v[8:9], v[4:5], v[0:1], v[8:9]
	v_fma_f64 v[10:11], v[6:7], v[0:1], v[10:11]
	s_delay_alu instid0(VALU_DEP_2) | instskip(NEXT) | instid1(VALU_DEP_2)
	v_fma_f64 v[0:1], -v[6:7], v[2:3], v[8:9]
	v_fma_f64 v[2:3], v[4:5], v[2:3], v[10:11]
	global_store_b128 v[16:17], v[0:3], off
.LBB7_26:
	s_nop 0
	s_sendmsg sendmsg(MSG_DEALLOC_VGPRS)
	s_endpgm
	.section	.rodata,"a",@progbits
	.p2align	6, 0x0
	.amdhsa_kernel _ZN9rocsparseL12gemvi_kernelILj1024ELj64Ei21rocsparse_complex_numIdEEEvT1_S3_NS_24const_host_device_scalarIT2_EEPKS5_lS3_S8_PKS3_S6_PS5_21rocsparse_index_base_b
		.amdhsa_group_segment_fixed_size 32768
		.amdhsa_private_segment_fixed_size 0
		.amdhsa_kernarg_size 96
		.amdhsa_user_sgpr_count 15
		.amdhsa_user_sgpr_dispatch_ptr 1
		.amdhsa_user_sgpr_queue_ptr 0
		.amdhsa_user_sgpr_kernarg_segment_ptr 1
		.amdhsa_user_sgpr_dispatch_id 0
		.amdhsa_user_sgpr_private_segment_size 0
		.amdhsa_wavefront_size32 1
		.amdhsa_uses_dynamic_stack 0
		.amdhsa_enable_private_segment 0
		.amdhsa_system_sgpr_workgroup_id_x 1
		.amdhsa_system_sgpr_workgroup_id_y 0
		.amdhsa_system_sgpr_workgroup_id_z 0
		.amdhsa_system_sgpr_workgroup_info 0
		.amdhsa_system_vgpr_workitem_id 2
		.amdhsa_next_free_vgpr 30
		.amdhsa_next_free_sgpr 20
		.amdhsa_reserve_vcc 1
		.amdhsa_float_round_mode_32 0
		.amdhsa_float_round_mode_16_64 0
		.amdhsa_float_denorm_mode_32 3
		.amdhsa_float_denorm_mode_16_64 3
		.amdhsa_dx10_clamp 1
		.amdhsa_ieee_mode 1
		.amdhsa_fp16_overflow 0
		.amdhsa_workgroup_processor_mode 1
		.amdhsa_memory_ordered 1
		.amdhsa_forward_progress 0
		.amdhsa_shared_vgpr_count 0
		.amdhsa_exception_fp_ieee_invalid_op 0
		.amdhsa_exception_fp_denorm_src 0
		.amdhsa_exception_fp_ieee_div_zero 0
		.amdhsa_exception_fp_ieee_overflow 0
		.amdhsa_exception_fp_ieee_underflow 0
		.amdhsa_exception_fp_ieee_inexact 0
		.amdhsa_exception_int_div_zero 0
	.end_amdhsa_kernel
	.section	.text._ZN9rocsparseL12gemvi_kernelILj1024ELj64Ei21rocsparse_complex_numIdEEEvT1_S3_NS_24const_host_device_scalarIT2_EEPKS5_lS3_S8_PKS3_S6_PS5_21rocsparse_index_base_b,"axG",@progbits,_ZN9rocsparseL12gemvi_kernelILj1024ELj64Ei21rocsparse_complex_numIdEEEvT1_S3_NS_24const_host_device_scalarIT2_EEPKS5_lS3_S8_PKS3_S6_PS5_21rocsparse_index_base_b,comdat
.Lfunc_end7:
	.size	_ZN9rocsparseL12gemvi_kernelILj1024ELj64Ei21rocsparse_complex_numIdEEEvT1_S3_NS_24const_host_device_scalarIT2_EEPKS5_lS3_S8_PKS3_S6_PS5_21rocsparse_index_base_b, .Lfunc_end7-_ZN9rocsparseL12gemvi_kernelILj1024ELj64Ei21rocsparse_complex_numIdEEEvT1_S3_NS_24const_host_device_scalarIT2_EEPKS5_lS3_S8_PKS3_S6_PS5_21rocsparse_index_base_b
                                        ; -- End function
	.section	.AMDGPU.csdata,"",@progbits
; Kernel info:
; codeLenInByte = 1500
; NumSgprs: 22
; NumVgprs: 30
; ScratchSize: 0
; MemoryBound: 0
; FloatMode: 240
; IeeeMode: 1
; LDSByteSize: 32768 bytes/workgroup (compile time only)
; SGPRBlocks: 2
; VGPRBlocks: 3
; NumSGPRsForWavesPerEU: 22
; NumVGPRsForWavesPerEU: 30
; Occupancy: 16
; WaveLimiterHint : 1
; COMPUTE_PGM_RSRC2:SCRATCH_EN: 0
; COMPUTE_PGM_RSRC2:USER_SGPR: 15
; COMPUTE_PGM_RSRC2:TRAP_HANDLER: 0
; COMPUTE_PGM_RSRC2:TGID_X_EN: 1
; COMPUTE_PGM_RSRC2:TGID_Y_EN: 0
; COMPUTE_PGM_RSRC2:TGID_Z_EN: 0
; COMPUTE_PGM_RSRC2:TIDIG_COMP_CNT: 2
	.text
	.p2alignl 7, 3214868480
	.fill 96, 4, 3214868480
	.type	__hip_cuid_fe768051a0a15233,@object ; @__hip_cuid_fe768051a0a15233
	.section	.bss,"aw",@nobits
	.globl	__hip_cuid_fe768051a0a15233
__hip_cuid_fe768051a0a15233:
	.byte	0                               ; 0x0
	.size	__hip_cuid_fe768051a0a15233, 1

	.ident	"AMD clang version 19.0.0git (https://github.com/RadeonOpenCompute/llvm-project roc-6.4.0 25133 c7fe45cf4b819c5991fe208aaa96edf142730f1d)"
	.section	".note.GNU-stack","",@progbits
	.addrsig
	.addrsig_sym __hip_cuid_fe768051a0a15233
	.amdgpu_metadata
---
amdhsa.kernels:
  - .args:
      - .offset:         0
        .size:           4
        .value_kind:     by_value
      - .offset:         4
        .size:           4
        .value_kind:     by_value
      - .offset:         8
        .size:           8
        .value_kind:     by_value
      - .actual_access:  read_only
        .address_space:  global
        .offset:         16
        .size:           8
        .value_kind:     global_buffer
      - .offset:         24
        .size:           8
        .value_kind:     by_value
      - .offset:         32
        .size:           4
        .value_kind:     by_value
      - .actual_access:  read_only
        .address_space:  global
        .offset:         40
        .size:           8
        .value_kind:     global_buffer
      - .actual_access:  read_only
        .address_space:  global
        .offset:         48
        .size:           8
        .value_kind:     global_buffer
      - .offset:         56
        .size:           8
        .value_kind:     by_value
      - .address_space:  global
        .offset:         64
        .size:           8
        .value_kind:     global_buffer
      - .offset:         72
        .size:           4
        .value_kind:     by_value
      - .offset:         76
        .size:           1
        .value_kind:     by_value
    .group_segment_fixed_size: 4096
    .kernarg_segment_align: 8
    .kernarg_segment_size: 80
    .language:       OpenCL C
    .language_version:
      - 2
      - 0
    .max_flat_workgroup_size: 1024
    .name:           _ZN9rocsparseL12gemvi_kernelILj1024ELj32EifEEvT1_S1_NS_24const_host_device_scalarIT2_EEPKS3_lS1_S6_PKS1_S4_PS3_21rocsparse_index_base_b
    .private_segment_fixed_size: 0
    .sgpr_count:     22
    .sgpr_spill_count: 0
    .symbol:         _ZN9rocsparseL12gemvi_kernelILj1024ELj32EifEEvT1_S1_NS_24const_host_device_scalarIT2_EEPKS3_lS1_S6_PKS1_S4_PS3_21rocsparse_index_base_b.kd
    .uniform_work_group_size: 1
    .uses_dynamic_stack: false
    .vgpr_count:     16
    .vgpr_spill_count: 0
    .wavefront_size: 32
    .workgroup_processor_mode: 1
  - .args:
      - .offset:         0
        .size:           4
        .value_kind:     by_value
      - .offset:         4
        .size:           4
        .value_kind:     by_value
      - .offset:         8
        .size:           8
        .value_kind:     by_value
      - .actual_access:  read_only
        .address_space:  global
        .offset:         16
        .size:           8
        .value_kind:     global_buffer
      - .offset:         24
        .size:           8
        .value_kind:     by_value
      - .offset:         32
        .size:           4
        .value_kind:     by_value
      - .actual_access:  read_only
        .address_space:  global
        .offset:         40
        .size:           8
        .value_kind:     global_buffer
      - .actual_access:  read_only
        .address_space:  global
        .offset:         48
        .size:           8
        .value_kind:     global_buffer
      - .offset:         56
        .size:           8
        .value_kind:     by_value
      - .address_space:  global
        .offset:         64
        .size:           8
        .value_kind:     global_buffer
      - .offset:         72
        .size:           4
        .value_kind:     by_value
      - .offset:         76
        .size:           1
        .value_kind:     by_value
    .group_segment_fixed_size: 4096
    .kernarg_segment_align: 8
    .kernarg_segment_size: 80
    .language:       OpenCL C
    .language_version:
      - 2
      - 0
    .max_flat_workgroup_size: 1024
    .name:           _ZN9rocsparseL12gemvi_kernelILj1024ELj64EifEEvT1_S1_NS_24const_host_device_scalarIT2_EEPKS3_lS1_S6_PKS1_S4_PS3_21rocsparse_index_base_b
    .private_segment_fixed_size: 0
    .sgpr_count:     22
    .sgpr_spill_count: 0
    .symbol:         _ZN9rocsparseL12gemvi_kernelILj1024ELj64EifEEvT1_S1_NS_24const_host_device_scalarIT2_EEPKS3_lS1_S6_PKS1_S4_PS3_21rocsparse_index_base_b.kd
    .uniform_work_group_size: 1
    .uses_dynamic_stack: false
    .vgpr_count:     16
    .vgpr_spill_count: 0
    .wavefront_size: 32
    .workgroup_processor_mode: 1
  - .args:
      - .offset:         0
        .size:           4
        .value_kind:     by_value
      - .offset:         4
        .size:           4
        .value_kind:     by_value
      - .offset:         8
        .size:           8
        .value_kind:     by_value
      - .actual_access:  read_only
        .address_space:  global
        .offset:         16
        .size:           8
        .value_kind:     global_buffer
      - .offset:         24
        .size:           8
        .value_kind:     by_value
      - .offset:         32
        .size:           4
        .value_kind:     by_value
      - .actual_access:  read_only
        .address_space:  global
        .offset:         40
        .size:           8
        .value_kind:     global_buffer
      - .actual_access:  read_only
        .address_space:  global
        .offset:         48
        .size:           8
        .value_kind:     global_buffer
      - .offset:         56
        .size:           8
        .value_kind:     by_value
      - .address_space:  global
        .offset:         64
        .size:           8
        .value_kind:     global_buffer
      - .offset:         72
        .size:           4
        .value_kind:     by_value
      - .offset:         76
        .size:           1
        .value_kind:     by_value
    .group_segment_fixed_size: 8192
    .kernarg_segment_align: 8
    .kernarg_segment_size: 80
    .language:       OpenCL C
    .language_version:
      - 2
      - 0
    .max_flat_workgroup_size: 1024
    .name:           _ZN9rocsparseL12gemvi_kernelILj1024ELj32EidEEvT1_S1_NS_24const_host_device_scalarIT2_EEPKS3_lS1_S6_PKS1_S4_PS3_21rocsparse_index_base_b
    .private_segment_fixed_size: 0
    .sgpr_count:     18
    .sgpr_spill_count: 0
    .symbol:         _ZN9rocsparseL12gemvi_kernelILj1024ELj32EidEEvT1_S1_NS_24const_host_device_scalarIT2_EEPKS3_lS1_S6_PKS1_S4_PS3_21rocsparse_index_base_b.kd
    .uniform_work_group_size: 1
    .uses_dynamic_stack: false
    .vgpr_count:     21
    .vgpr_spill_count: 0
    .wavefront_size: 32
    .workgroup_processor_mode: 1
  - .args:
      - .offset:         0
        .size:           4
        .value_kind:     by_value
      - .offset:         4
        .size:           4
        .value_kind:     by_value
      - .offset:         8
        .size:           8
        .value_kind:     by_value
      - .actual_access:  read_only
        .address_space:  global
        .offset:         16
        .size:           8
        .value_kind:     global_buffer
      - .offset:         24
        .size:           8
        .value_kind:     by_value
      - .offset:         32
        .size:           4
        .value_kind:     by_value
      - .actual_access:  read_only
        .address_space:  global
        .offset:         40
        .size:           8
        .value_kind:     global_buffer
      - .actual_access:  read_only
        .address_space:  global
        .offset:         48
        .size:           8
        .value_kind:     global_buffer
      - .offset:         56
        .size:           8
        .value_kind:     by_value
      - .address_space:  global
        .offset:         64
        .size:           8
        .value_kind:     global_buffer
      - .offset:         72
        .size:           4
        .value_kind:     by_value
      - .offset:         76
        .size:           1
        .value_kind:     by_value
    .group_segment_fixed_size: 8192
    .kernarg_segment_align: 8
    .kernarg_segment_size: 80
    .language:       OpenCL C
    .language_version:
      - 2
      - 0
    .max_flat_workgroup_size: 1024
    .name:           _ZN9rocsparseL12gemvi_kernelILj1024ELj64EidEEvT1_S1_NS_24const_host_device_scalarIT2_EEPKS3_lS1_S6_PKS1_S4_PS3_21rocsparse_index_base_b
    .private_segment_fixed_size: 0
    .sgpr_count:     18
    .sgpr_spill_count: 0
    .symbol:         _ZN9rocsparseL12gemvi_kernelILj1024ELj64EidEEvT1_S1_NS_24const_host_device_scalarIT2_EEPKS3_lS1_S6_PKS1_S4_PS3_21rocsparse_index_base_b.kd
    .uniform_work_group_size: 1
    .uses_dynamic_stack: false
    .vgpr_count:     21
    .vgpr_spill_count: 0
    .wavefront_size: 32
    .workgroup_processor_mode: 1
  - .args:
      - .offset:         0
        .size:           4
        .value_kind:     by_value
      - .offset:         4
        .size:           4
        .value_kind:     by_value
      - .offset:         8
        .size:           8
        .value_kind:     by_value
      - .actual_access:  read_only
        .address_space:  global
        .offset:         16
        .size:           8
        .value_kind:     global_buffer
      - .offset:         24
        .size:           8
        .value_kind:     by_value
      - .offset:         32
        .size:           4
        .value_kind:     by_value
      - .actual_access:  read_only
        .address_space:  global
        .offset:         40
        .size:           8
        .value_kind:     global_buffer
      - .actual_access:  read_only
        .address_space:  global
        .offset:         48
        .size:           8
        .value_kind:     global_buffer
      - .offset:         56
        .size:           8
        .value_kind:     by_value
      - .address_space:  global
        .offset:         64
        .size:           8
        .value_kind:     global_buffer
      - .offset:         72
        .size:           4
        .value_kind:     by_value
      - .offset:         76
        .size:           1
        .value_kind:     by_value
    .group_segment_fixed_size: 8192
    .kernarg_segment_align: 8
    .kernarg_segment_size: 80
    .language:       OpenCL C
    .language_version:
      - 2
      - 0
    .max_flat_workgroup_size: 1024
    .name:           _ZN9rocsparseL12gemvi_kernelILj1024ELj32Ei21rocsparse_complex_numIfEEEvT1_S3_NS_24const_host_device_scalarIT2_EEPKS5_lS3_S8_PKS3_S6_PS5_21rocsparse_index_base_b
    .private_segment_fixed_size: 0
    .sgpr_count:     18
    .sgpr_spill_count: 0
    .symbol:         _ZN9rocsparseL12gemvi_kernelILj1024ELj32Ei21rocsparse_complex_numIfEEEvT1_S3_NS_24const_host_device_scalarIT2_EEPKS5_lS3_S8_PKS3_S6_PS5_21rocsparse_index_base_b.kd
    .uniform_work_group_size: 1
    .uses_dynamic_stack: false
    .vgpr_count:     21
    .vgpr_spill_count: 0
    .wavefront_size: 32
    .workgroup_processor_mode: 1
  - .args:
      - .offset:         0
        .size:           4
        .value_kind:     by_value
      - .offset:         4
        .size:           4
        .value_kind:     by_value
      - .offset:         8
        .size:           8
        .value_kind:     by_value
      - .actual_access:  read_only
        .address_space:  global
        .offset:         16
        .size:           8
        .value_kind:     global_buffer
      - .offset:         24
        .size:           8
        .value_kind:     by_value
      - .offset:         32
        .size:           4
        .value_kind:     by_value
      - .actual_access:  read_only
        .address_space:  global
        .offset:         40
        .size:           8
        .value_kind:     global_buffer
      - .actual_access:  read_only
        .address_space:  global
        .offset:         48
        .size:           8
        .value_kind:     global_buffer
      - .offset:         56
        .size:           8
        .value_kind:     by_value
      - .address_space:  global
        .offset:         64
        .size:           8
        .value_kind:     global_buffer
      - .offset:         72
        .size:           4
        .value_kind:     by_value
      - .offset:         76
        .size:           1
        .value_kind:     by_value
    .group_segment_fixed_size: 8192
    .kernarg_segment_align: 8
    .kernarg_segment_size: 80
    .language:       OpenCL C
    .language_version:
      - 2
      - 0
    .max_flat_workgroup_size: 1024
    .name:           _ZN9rocsparseL12gemvi_kernelILj1024ELj64Ei21rocsparse_complex_numIfEEEvT1_S3_NS_24const_host_device_scalarIT2_EEPKS5_lS3_S8_PKS3_S6_PS5_21rocsparse_index_base_b
    .private_segment_fixed_size: 0
    .sgpr_count:     18
    .sgpr_spill_count: 0
    .symbol:         _ZN9rocsparseL12gemvi_kernelILj1024ELj64Ei21rocsparse_complex_numIfEEEvT1_S3_NS_24const_host_device_scalarIT2_EEPKS5_lS3_S8_PKS3_S6_PS5_21rocsparse_index_base_b.kd
    .uniform_work_group_size: 1
    .uses_dynamic_stack: false
    .vgpr_count:     21
    .vgpr_spill_count: 0
    .wavefront_size: 32
    .workgroup_processor_mode: 1
  - .args:
      - .offset:         0
        .size:           4
        .value_kind:     by_value
      - .offset:         4
        .size:           4
        .value_kind:     by_value
      - .offset:         8
        .size:           16
        .value_kind:     by_value
      - .actual_access:  read_only
        .address_space:  global
        .offset:         24
        .size:           8
        .value_kind:     global_buffer
      - .offset:         32
        .size:           8
        .value_kind:     by_value
      - .offset:         40
        .size:           4
        .value_kind:     by_value
      - .actual_access:  read_only
        .address_space:  global
        .offset:         48
        .size:           8
        .value_kind:     global_buffer
      - .actual_access:  read_only
        .address_space:  global
        .offset:         56
        .size:           8
        .value_kind:     global_buffer
      - .offset:         64
        .size:           16
        .value_kind:     by_value
      - .address_space:  global
        .offset:         80
        .size:           8
        .value_kind:     global_buffer
      - .offset:         88
        .size:           4
        .value_kind:     by_value
      - .offset:         92
        .size:           1
        .value_kind:     by_value
    .group_segment_fixed_size: 32768
    .kernarg_segment_align: 8
    .kernarg_segment_size: 96
    .language:       OpenCL C
    .language_version:
      - 2
      - 0
    .max_flat_workgroup_size: 1024
    .name:           _ZN9rocsparseL12gemvi_kernelILj1024ELj32Ei21rocsparse_complex_numIdEEEvT1_S3_NS_24const_host_device_scalarIT2_EEPKS5_lS3_S8_PKS3_S6_PS5_21rocsparse_index_base_b
    .private_segment_fixed_size: 0
    .sgpr_count:     22
    .sgpr_spill_count: 0
    .symbol:         _ZN9rocsparseL12gemvi_kernelILj1024ELj32Ei21rocsparse_complex_numIdEEEvT1_S3_NS_24const_host_device_scalarIT2_EEPKS5_lS3_S8_PKS3_S6_PS5_21rocsparse_index_base_b.kd
    .uniform_work_group_size: 1
    .uses_dynamic_stack: false
    .vgpr_count:     30
    .vgpr_spill_count: 0
    .wavefront_size: 32
    .workgroup_processor_mode: 1
  - .args:
      - .offset:         0
        .size:           4
        .value_kind:     by_value
      - .offset:         4
        .size:           4
        .value_kind:     by_value
      - .offset:         8
        .size:           16
        .value_kind:     by_value
      - .actual_access:  read_only
        .address_space:  global
        .offset:         24
        .size:           8
        .value_kind:     global_buffer
      - .offset:         32
        .size:           8
        .value_kind:     by_value
      - .offset:         40
        .size:           4
        .value_kind:     by_value
      - .actual_access:  read_only
        .address_space:  global
        .offset:         48
        .size:           8
        .value_kind:     global_buffer
      - .actual_access:  read_only
        .address_space:  global
        .offset:         56
        .size:           8
        .value_kind:     global_buffer
      - .offset:         64
        .size:           16
        .value_kind:     by_value
      - .address_space:  global
        .offset:         80
        .size:           8
        .value_kind:     global_buffer
      - .offset:         88
        .size:           4
        .value_kind:     by_value
      - .offset:         92
        .size:           1
        .value_kind:     by_value
    .group_segment_fixed_size: 32768
    .kernarg_segment_align: 8
    .kernarg_segment_size: 96
    .language:       OpenCL C
    .language_version:
      - 2
      - 0
    .max_flat_workgroup_size: 1024
    .name:           _ZN9rocsparseL12gemvi_kernelILj1024ELj64Ei21rocsparse_complex_numIdEEEvT1_S3_NS_24const_host_device_scalarIT2_EEPKS5_lS3_S8_PKS3_S6_PS5_21rocsparse_index_base_b
    .private_segment_fixed_size: 0
    .sgpr_count:     22
    .sgpr_spill_count: 0
    .symbol:         _ZN9rocsparseL12gemvi_kernelILj1024ELj64Ei21rocsparse_complex_numIdEEEvT1_S3_NS_24const_host_device_scalarIT2_EEPKS5_lS3_S8_PKS3_S6_PS5_21rocsparse_index_base_b.kd
    .uniform_work_group_size: 1
    .uses_dynamic_stack: false
    .vgpr_count:     30
    .vgpr_spill_count: 0
    .wavefront_size: 32
    .workgroup_processor_mode: 1
amdhsa.target:   amdgcn-amd-amdhsa--gfx1100
amdhsa.version:
  - 1
  - 2
...

	.end_amdgpu_metadata
